;; amdgpu-corpus repo=ROCm/rocSOLVER kind=compiled arch=gfx90a opt=O3
	.text
	.amdgcn_target "amdgcn-amd-amdhsa--gfx90a"
	.amdhsa_code_object_version 6
	.section	.text._ZN9rocsolver6v33100L11lasr_kernelIffPfiEEv13rocblas_side_14rocblas_pivot_15rocblas_direct_T2_S6_PT0_lS8_lT1_lS6_lS6_,"axG",@progbits,_ZN9rocsolver6v33100L11lasr_kernelIffPfiEEv13rocblas_side_14rocblas_pivot_15rocblas_direct_T2_S6_PT0_lS8_lT1_lS6_lS6_,comdat
	.globl	_ZN9rocsolver6v33100L11lasr_kernelIffPfiEEv13rocblas_side_14rocblas_pivot_15rocblas_direct_T2_S6_PT0_lS8_lT1_lS6_lS6_ ; -- Begin function _ZN9rocsolver6v33100L11lasr_kernelIffPfiEEv13rocblas_side_14rocblas_pivot_15rocblas_direct_T2_S6_PT0_lS8_lT1_lS6_lS6_
	.p2align	8
	.type	_ZN9rocsolver6v33100L11lasr_kernelIffPfiEEv13rocblas_side_14rocblas_pivot_15rocblas_direct_T2_S6_PT0_lS8_lT1_lS6_lS6_,@function
_ZN9rocsolver6v33100L11lasr_kernelIffPfiEEv13rocblas_side_14rocblas_pivot_15rocblas_direct_T2_S6_PT0_lS8_lT1_lS6_lS6_: ; @_ZN9rocsolver6v33100L11lasr_kernelIffPfiEEv13rocblas_side_14rocblas_pivot_15rocblas_direct_T2_S6_PT0_lS8_lT1_lS6_lS6_
; %bb.0:
	s_load_dword s33, s[4:5], 0x58
	s_waitcnt lgkmcnt(0)
	s_cmp_ge_u32 s7, s33
	s_cbranch_scc1 .LBB0_98
; %bb.1:
	s_load_dwordx4 s[0:3], s[4:5], 0x38
	s_load_dword s20, s[4:5], 0x48
	s_load_dwordx2 s[22:23], s[4:5], 0x50
	s_load_dword s26, s[4:5], 0x60
	s_load_dwordx2 s[24:25], s[4:5], 0x68
	s_load_dwordx4 s[16:19], s[4:5], 0x0
	s_load_dword s86, s[4:5], 0x10
	s_load_dwordx8 s[8:15], s[4:5], 0x18
	s_waitcnt lgkmcnt(0)
	s_ashr_i32 s21, s20, 31
	s_and_b32 s5, s25, 0xffff
	s_mul_i32 s6, s6, s5
	s_lshl_b64 s[2:3], s[2:3], 2
	v_add_u32_e32 v0, s6, v0
	s_add_u32 s6, s0, s2
	s_addc_u32 s25, s1, s3
	s_cmpk_lg_i32 s16, 0x8d
	s_cselect_b64 s[38:39], -1, 0
	s_cmpk_lg_i32 s16, 0x8e
	s_cselect_b64 s[44:45], -1, 0
	;; [unrolled: 2-line block ×6, first 2 shown]
	s_or_b64 s[28:29], s[38:39], s[42:43]
	s_or_b64 s[16:17], s[28:29], s[52:53]
	s_xor_b64 s[16:17], s[16:17], -1
	s_ashr_i32 s27, s19, 31
	s_add_i32 s62, s19, -2
	s_cmpk_lg_i32 s18, 0xac
	s_cselect_b64 s[54:55], -1, 0
	s_or_b64 s[28:29], s[28:29], s[54:55]
	s_xor_b64 s[28:29], s[28:29], -1
	s_cmp_gt_i32 s19, 1
	s_cselect_b64 s[30:31], -1, 0
	s_or_b64 s[36:37], s[38:39], s[50:51]
	s_or_b64 s[40:41], s[38:39], s[48:49]
	;; [unrolled: 1-line block ×9, first 2 shown]
	s_xor_b64 s[34:35], s[34:35], -1
	s_xor_b64 s[36:37], s[36:37], -1
	;; [unrolled: 1-line block ×5, first 2 shown]
	s_add_i32 s18, s86, -1
	s_xor_b64 s[46:47], s[46:47], -1
                                        ; implicit-def: $vgpr42 : SGPR spill to VGPR lane
	s_add_i32 s68, s86, -2
	v_writelane_b32 v42, s46, 0
	s_cmp_gt_i32 s86, 1
	v_writelane_b32 v42, s47, 1
	s_cselect_b64 s[46:47], -1, 0
	s_or_b64 s[50:51], s[44:45], s[50:51]
	s_or_b64 s[56:57], s[50:51], s[52:53]
	s_xor_b64 s[56:57], s[56:57], -1
	v_writelane_b32 v42, s56, 2
	s_or_b64 s[50:51], s[50:51], s[54:55]
	v_writelane_b32 v42, s57, 3
	s_xor_b64 s[50:51], s[50:51], -1
	s_or_b64 s[44:45], s[44:45], s[48:49]
	v_writelane_b32 v42, s50, 4
	s_or_b64 s[48:49], s[44:45], s[52:53]
	v_writelane_b32 v42, s51, 5
	s_xor_b64 s[48:49], s[48:49], -1
	v_writelane_b32 v42, s48, 6
	v_cmp_le_i32_e32 vcc, s19, v0
	v_writelane_b32 v42, s49, 7
	s_or_b64 s[48:49], s[54:55], vcc
	s_or_b64 s[44:45], s[44:45], s[48:49]
	s_xor_b64 s[44:45], s[44:45], -1
	v_writelane_b32 v42, s44, 8
	s_mul_i32 s4, s26, s5
	v_writelane_b32 v42, s45, 9
	v_mad_i64_i32 v[2:3], s[44:45], s20, v0, 0
	s_mul_hi_i32 s45, s20, s4
	s_mul_i32 s44, s20, s4
	s_mov_b32 s63, 0
	s_add_i32 s56, s19, -1
	s_lshl_b64 s[58:59], s[22:23], 2
	s_ashr_i32 s5, s4, 31
	s_lshl_b64 s[60:61], s[44:45], 2
	s_lshl_b64 s[10:11], s[10:11], 2
	s_lshl_b64 s[14:15], s[14:15], 2
	s_lshl_b64 s[44:45], s[62:63], 2
	s_add_u32 s87, s8, s44
	s_addc_u32 s88, s9, s45
	s_add_u32 s89, s12, s44
	s_addc_u32 s90, s13, s45
	s_mov_b32 s57, s63
	s_add_u32 s26, s0, s44
	s_addc_u32 s48, s1, s45
	s_add_i32 s91, s19, 1
	s_lshl_b64 s[44:45], s[56:57], 2
	s_add_u32 s49, s0, s44
	v_lshlrev_b64 v[2:3], 2, v[2:3]
	s_addc_u32 s50, s1, s45
	s_mul_i32 s44, s21, s18
	s_mul_hi_u32 s45, s20, s18
	s_mul_i32 s62, s20, s18
	v_mov_b32_e32 v1, s3
	v_add_co_u32_e32 v4, vcc, s2, v2
	s_add_i32 s45, s45, s44
	s_mov_b32 s44, s62
	v_addc_co_u32_e32 v1, vcc, v3, v1, vcc
	s_lshl_b64 s[44:45], s[44:45], 2
	s_lshl_b64 s[64:65], s[20:21], 2
	;; [unrolled: 1-line block ×3, first 2 shown]
	s_add_u32 s5, s44, s2
	v_mov_b32_e32 v2, s1
	v_add_co_u32_e32 v18, vcc, s0, v4
	s_addc_u32 s44, s45, s3
	v_addc_co_u32_e32 v19, vcc, v2, v1, vcc
	s_mov_b32 s69, s63
	s_add_u32 s51, s0, s5
	v_add_co_u32_e32 v2, vcc, 4, v18
	s_addc_u32 s52, s1, s44
	s_lshl_b64 s[44:45], s[68:69], 2
	v_addc_co_u32_e32 v3, vcc, 0, v19, vcc
	s_add_u32 s5, s8, s44
	v_mov_b32_e32 v5, s48
	v_add_co_u32_e32 v20, vcc, s26, v4
	s_addc_u32 s57, s9, s45
	v_addc_co_u32_e32 v21, vcc, v5, v1, vcc
	s_add_u32 s92, s12, s44
	s_mul_i32 s21, s21, s68
	s_mul_hi_u32 s44, s20, s68
	v_add_co_u32_e32 v22, vcc, 4, v20
	s_addc_u32 s93, s13, s45
	s_add_i32 s45, s44, s21
	s_mul_i32 s44, s20, s68
	v_addc_co_u32_e32 v23, vcc, 0, v21, vcc
	s_lshl_b64 s[44:45], s[44:45], 2
	v_mov_b32_e32 v5, s50
	v_add_co_u32_e32 v24, vcc, s49, v4
	s_add_u32 s21, s44, s2
	v_addc_co_u32_e32 v25, vcc, v5, v1, vcc
	v_ashrrev_i32_e32 v1, 31, v0
	s_addc_u32 s44, s45, s3
	v_lshlrev_b64 v[4:5], 2, v[0:1]
	s_add_u32 s21, s0, s21
	v_mov_b32_e32 v6, s25
	v_add_co_u32_e32 v1, vcc, s6, v4
	s_addc_u32 s44, s1, s44
	v_addc_co_u32_e32 v26, vcc, v6, v5, vcc
	s_add_u32 s2, s2, s64
	v_mov_b32_e32 v6, s52
	v_add_co_u32_e32 v27, vcc, s51, v4
	s_addc_u32 s3, s3, s65
	v_addc_co_u32_e32 v28, vcc, v6, v5, vcc
	;; [unrolled: 5-line block ×3, first 2 shown]
	s_add_i32 s21, s86, 1
	v_mov_b32_e32 v6, s1
	v_add_co_u32_e32 v31, vcc, s2, v4
	s_sub_u32 s94, 0, s64
	v_addc_co_u32_e32 v32, vcc, v6, v5, vcc
	s_mov_b32 s26, s19
	s_mul_hi_i32 s63, s20, s18
	s_subb_u32 s95, 0, s65
	v_mov_b32_e32 v33, 0
	v_mov_b32_e32 v34, s61
	v_cmp_gt_i32_e64 s[0:1], s86, v0
	v_cmp_gt_i32_e64 s[2:3], s19, v0
	s_branch .LBB0_4
.LBB0_2:                                ;   in Loop: Header=BB0_4 Depth=1
	s_or_b64 exec, exec, s[68:69]
.LBB0_3:                                ;   in Loop: Header=BB0_4 Depth=1
	s_add_i32 s7, s7, s24
	s_cmp_ge_u32 s7, s33
	s_cbranch_scc1 .LBB0_98
.LBB0_4:                                ; =>This Loop Header: Depth=1
                                        ;     Child Loop BB0_8 Depth 2
                                        ;       Child Loop BB0_9 Depth 3
                                        ;     Child Loop BB0_16 Depth 2
                                        ;       Child Loop BB0_17 Depth 3
                                        ;     Child Loop BB0_24 Depth 2
                                        ;       Child Loop BB0_25 Depth 3
                                        ;     Child Loop BB0_32 Depth 2
                                        ;       Child Loop BB0_33 Depth 3
                                        ;     Child Loop BB0_40 Depth 2
                                        ;       Child Loop BB0_41 Depth 3
                                        ;     Child Loop BB0_48 Depth 2
                                        ;       Child Loop BB0_49 Depth 3
                                        ;     Child Loop BB0_56 Depth 2
                                        ;       Child Loop BB0_57 Depth 3
                                        ;     Child Loop BB0_64 Depth 2
                                        ;       Child Loop BB0_66 Depth 3
                                        ;     Child Loop BB0_73 Depth 2
                                        ;       Child Loop BB0_74 Depth 3
                                        ;     Child Loop BB0_81 Depth 2
                                        ;       Child Loop BB0_82 Depth 3
                                        ;     Child Loop BB0_89 Depth 2
                                        ;       Child Loop BB0_90 Depth 3
                                        ;     Child Loop BB0_96 Depth 2
                                        ;       Child Loop BB0_97 Depth 3
	s_mul_i32 s44, s11, s7
	s_mul_hi_u32 s45, s10, s7
	s_add_i32 s84, s45, s44
	s_mul_i32 s44, s15, s7
	s_mul_hi_u32 s45, s14, s7
	s_mul_i32 s85, s10, s7
	s_add_i32 s50, s45, s44
	s_add_u32 s68, s8, s85
	v_mov_b32_e32 v4, s7
	s_mul_i32 s51, s14, s7
	s_addc_u32 s69, s9, s84
	v_mad_u64_u32 v[4:5], s[44:45], s58, v4, v[2:3]
	s_add_u32 s70, s12, s51
	s_mul_i32 s44, s7, s23
	s_mul_hi_u32 s45, s7, s22
	s_addc_u32 s71, s13, s50
	s_add_i32 s45, s45, s44
	s_mul_i32 s44, s7, s22
	s_lshl_b64 s[44:45], s[44:45], 2
	s_mul_i32 s52, s59, s7
	s_add_u32 s54, s6, s44
	v_add_u32_e32 v5, s52, v5
	s_addc_u32 s55, s25, s45
	s_andn2_b64 vcc, exec, s[16:17]
	s_mov_b64 s[72:73], -1
	s_cbranch_vccnz .LBB0_11
; %bb.5:                                ;   in Loop: Header=BB0_4 Depth=1
	s_and_saveexec_b64 s[72:73], s[0:1]
	s_cbranch_execz .LBB0_10
; %bb.6:                                ;   in Loop: Header=BB0_4 Depth=1
	s_lshl_b64 s[44:45], s[26:27], 2
	s_add_u32 s44, s54, s44
	s_addc_u32 s45, s55, s45
	s_add_u32 s48, s44, -4
	s_addc_u32 s44, s45, -1
	s_mov_b64 s[74:75], 0
	v_mov_b32_e32 v12, s55
	v_mov_b32_e32 v13, s44
	v_pk_mov_b32 v[6:7], v[4:5], v[4:5] op_sel:[0,1]
	v_mov_b32_e32 v14, v0
	s_branch .LBB0_8
.LBB0_7:                                ;   in Loop: Header=BB0_8 Depth=2
	v_add_co_u32_e32 v8, vcc, s48, v8
	v_addc_co_u32_e32 v9, vcc, v13, v9, vcc
	v_add_u32_e32 v14, s4, v14
	v_cmp_le_i32_e32 vcc, s86, v14
	s_or_b64 s[74:75], vcc, s[74:75]
	v_add_co_u32_e32 v6, vcc, s60, v6
	v_addc_co_u32_e32 v7, vcc, v7, v34, vcc
	s_waitcnt vmcnt(0)
	global_store_dword v[8:9], v15, off
	s_andn2_b64 exec, exec, s[74:75]
	s_cbranch_execz .LBB0_10
.LBB0_8:                                ;   Parent Loop BB0_4 Depth=1
                                        ; =>  This Loop Header: Depth=2
                                        ;       Child Loop BB0_9 Depth 3
	v_mad_i64_i32 v[8:9], s[44:45], v14, s20, 0
	v_lshlrev_b64 v[8:9], 2, v[8:9]
	v_add_co_u32_e32 v10, vcc, s54, v8
	v_addc_co_u32_e32 v11, vcc, v12, v9, vcc
	global_load_dword v15, v[10:11], off
	s_andn2_b64 vcc, exec, s[30:31]
	s_mov_b64 s[76:77], s[70:71]
	s_mov_b64 s[78:79], s[68:69]
	v_pk_mov_b32 v[10:11], v[6:7], v[6:7] op_sel:[0,1]
	s_mov_b32 s44, s56
	s_cbranch_vccnz .LBB0_7
.LBB0_9:                                ;   Parent Loop BB0_4 Depth=1
                                        ;     Parent Loop BB0_8 Depth=2
                                        ; =>    This Inner Loop Header: Depth=3
	global_load_dword v16, v33, s[76:77]
	global_load_dword v17, v[10:11], off
	global_load_dword v35, v33, s[78:79]
	s_add_i32 s44, s44, -1
	s_add_u32 s78, s78, 4
	s_addc_u32 s79, s79, 0
	s_add_u32 s76, s76, 4
	s_addc_u32 s77, s77, 0
	s_cmp_eq_u32 s44, 0
	s_waitcnt vmcnt(1)
	v_mul_f32_e32 v36, v16, v17
	s_waitcnt vmcnt(0)
	v_fmac_f32_e32 v36, v15, v35
	v_mul_f32_e32 v16, v15, v16
	global_store_dword v[10:11], v36, off offset:-4
	v_add_co_u32_e32 v10, vcc, 4, v10
	v_fma_f32 v15, v35, v17, -v16
	v_addc_co_u32_e32 v11, vcc, 0, v11, vcc
	s_cbranch_scc0 .LBB0_9
	s_branch .LBB0_7
.LBB0_10:                               ;   in Loop: Header=BB0_4 Depth=1
	s_or_b64 exec, exec, s[72:73]
	s_mov_b64 s[72:73], 0
.LBB0_11:                               ;   in Loop: Header=BB0_4 Depth=1
	s_andn2_b64 vcc, exec, s[72:73]
	s_cbranch_vccnz .LBB0_3
; %bb.12:                               ;   in Loop: Header=BB0_4 Depth=1
	s_mul_hi_u32 s44, s58, s7
	s_add_i32 s52, s44, s52
	s_add_u32 s72, s87, s85
	s_addc_u32 s73, s88, s84
	s_add_u32 s74, s89, s51
	s_mul_i32 s53, s58, s7
	s_addc_u32 s75, s90, s50
	s_andn2_b64 vcc, exec, s[28:29]
	s_mov_b64 s[76:77], -1
	s_cbranch_vccnz .LBB0_19
; %bb.13:                               ;   in Loop: Header=BB0_4 Depth=1
	s_and_saveexec_b64 s[76:77], s[0:1]
	s_cbranch_execz .LBB0_18
; %bb.14:                               ;   in Loop: Header=BB0_4 Depth=1
	s_lshl_b64 s[44:45], s[26:27], 2
	s_add_u32 s44, s54, s44
	s_addc_u32 s45, s55, s45
	s_add_u32 s48, s44, -4
	v_mov_b32_e32 v7, s52
	v_add_co_u32_e32 v6, vcc, s53, v22
	s_addc_u32 s44, s45, -1
	v_addc_co_u32_e32 v7, vcc, v23, v7, vcc
	s_mov_b64 s[78:79], 0
	v_mov_b32_e32 v12, s44
	v_mov_b32_e32 v13, v0
	s_branch .LBB0_16
.LBB0_15:                               ;   in Loop: Header=BB0_16 Depth=2
	v_mov_b32_e32 v10, s55
	v_add_co_u32_e32 v8, vcc, s54, v8
	v_addc_co_u32_e32 v9, vcc, v10, v9, vcc
	v_add_u32_e32 v13, s4, v13
	v_cmp_le_i32_e32 vcc, s86, v13
	s_waitcnt vmcnt(0)
	global_store_dword v[8:9], v14, off
	v_mov_b32_e32 v8, s61
	s_or_b64 s[78:79], vcc, s[78:79]
	v_add_co_u32_e32 v6, vcc, s60, v6
	v_addc_co_u32_e32 v7, vcc, v7, v8, vcc
	s_andn2_b64 exec, exec, s[78:79]
	s_cbranch_execz .LBB0_18
.LBB0_16:                               ;   Parent Loop BB0_4 Depth=1
                                        ; =>  This Loop Header: Depth=2
                                        ;       Child Loop BB0_17 Depth 3
	v_mad_i64_i32 v[8:9], s[44:45], v13, s20, 0
	v_lshlrev_b64 v[8:9], 2, v[8:9]
	v_add_co_u32_e32 v10, vcc, s48, v8
	v_addc_co_u32_e32 v11, vcc, v12, v9, vcc
	global_load_dword v14, v[10:11], off
	s_andn2_b64 vcc, exec, s[30:31]
	v_pk_mov_b32 v[10:11], v[6:7], v[6:7] op_sel:[0,1]
	s_mov_b64 s[80:81], s[74:75]
	s_mov_b64 s[82:83], s[72:73]
	s_mov_b32 s49, s56
	s_cbranch_vccnz .LBB0_15
.LBB0_17:                               ;   Parent Loop BB0_4 Depth=1
                                        ;     Parent Loop BB0_16 Depth=2
                                        ; =>    This Inner Loop Header: Depth=3
	global_load_dword v15, v33, s[80:81]
	global_load_dword v35, v[10:11], off offset:-4
	global_load_dword v36, v33, s[82:83]
	s_add_i32 s49, s49, -1
	s_add_u32 s82, s82, -4
	s_addc_u32 s83, s83, -1
	v_add_co_u32_e32 v16, vcc, -4, v10
	s_waitcnt vmcnt(3)
	v_mov_b32_e32 v37, v14
	s_add_u32 s80, s80, -4
	v_addc_co_u32_e32 v17, vcc, -1, v11, vcc
	s_addc_u32 s81, s81, -1
	s_cmp_eq_u32 s49, 0
	s_waitcnt vmcnt(1)
	v_mul_f32_e32 v38, v15, v35
	s_waitcnt vmcnt(0)
	v_mul_f32_e32 v14, v36, v35
	v_fma_f32 v35, v37, v36, -v38
	v_fmac_f32_e32 v14, v37, v15
	global_store_dword v[10:11], v35, off
	v_pk_mov_b32 v[10:11], v[16:17], v[16:17] op_sel:[0,1]
	s_cbranch_scc0 .LBB0_17
	s_branch .LBB0_15
.LBB0_18:                               ;   in Loop: Header=BB0_4 Depth=1
	s_or_b64 exec, exec, s[76:77]
	s_mov_b64 s[76:77], 0
.LBB0_19:                               ;   in Loop: Header=BB0_4 Depth=1
	s_andn2_b64 vcc, exec, s[76:77]
	s_cbranch_vccnz .LBB0_3
; %bb.20:                               ;   in Loop: Header=BB0_4 Depth=1
	s_andn2_b64 vcc, exec, s[34:35]
	s_mov_b64 s[76:77], -1
	s_cbranch_vccnz .LBB0_27
; %bb.21:                               ;   in Loop: Header=BB0_4 Depth=1
	s_and_saveexec_b64 s[76:77], s[0:1]
	s_cbranch_execz .LBB0_26
; %bb.22:                               ;   in Loop: Header=BB0_4 Depth=1
	s_mov_b64 s[78:79], 0
	v_mov_b32_e32 v10, v0
	s_branch .LBB0_24
.LBB0_23:                               ;   in Loop: Header=BB0_24 Depth=2
	v_add_u32_e32 v10, s4, v10
	v_cmp_le_i32_e32 vcc, s86, v10
	s_waitcnt vmcnt(0)
	global_store_dword v[6:7], v11, off
	v_mov_b32_e32 v6, s61
	s_or_b64 s[78:79], vcc, s[78:79]
	v_add_co_u32_e32 v4, vcc, s60, v4
	v_addc_co_u32_e32 v5, vcc, v5, v6, vcc
	s_andn2_b64 exec, exec, s[78:79]
	s_cbranch_execz .LBB0_26
.LBB0_24:                               ;   Parent Loop BB0_4 Depth=1
                                        ; =>  This Loop Header: Depth=2
                                        ;       Child Loop BB0_25 Depth 3
	v_mad_i64_i32 v[6:7], s[44:45], v10, s20, 0
	v_lshlrev_b64 v[6:7], 2, v[6:7]
	v_mov_b32_e32 v8, s55
	v_add_co_u32_e32 v6, vcc, s54, v6
	v_addc_co_u32_e32 v7, vcc, v8, v7, vcc
	global_load_dword v11, v[6:7], off
	s_andn2_b64 vcc, exec, s[30:31]
	v_pk_mov_b32 v[8:9], v[4:5], v[4:5] op_sel:[0,1]
	s_mov_b32 s48, s56
	s_mov_b64 s[80:81], s[68:69]
	s_mov_b64 s[82:83], s[70:71]
	s_cbranch_vccnz .LBB0_23
.LBB0_25:                               ;   Parent Loop BB0_4 Depth=1
                                        ;     Parent Loop BB0_24 Depth=2
                                        ; =>    This Inner Loop Header: Depth=3
	global_load_dword v12, v33, s[82:83]
	global_load_dword v13, v[8:9], off
	global_load_dword v14, v33, s[80:81]
	s_waitcnt vmcnt(3)
	v_mov_b32_e32 v15, v11
	s_add_u32 s82, s82, 4
	s_addc_u32 s83, s83, 0
	s_add_u32 s80, s80, 4
	s_addc_u32 s81, s81, 0
	s_add_i32 s48, s48, -1
	s_cmp_eq_u32 s48, 0
	s_waitcnt vmcnt(2)
	v_mul_f32_e32 v16, v15, v12
	s_waitcnt vmcnt(1)
	v_mul_f32_e32 v11, v12, v13
	s_waitcnt vmcnt(0)
	v_fma_f32 v12, v14, v13, -v16
	global_store_dword v[8:9], v12, off
	v_add_co_u32_e32 v8, vcc, 4, v8
	v_fmac_f32_e32 v11, v15, v14
	v_addc_co_u32_e32 v9, vcc, 0, v9, vcc
	s_cbranch_scc0 .LBB0_25
	s_branch .LBB0_23
.LBB0_26:                               ;   in Loop: Header=BB0_4 Depth=1
	s_or_b64 exec, exec, s[76:77]
	s_mov_b64 s[76:77], 0
.LBB0_27:                               ;   in Loop: Header=BB0_4 Depth=1
	s_andn2_b64 vcc, exec, s[76:77]
	s_cbranch_vccnz .LBB0_3
; %bb.28:                               ;   in Loop: Header=BB0_4 Depth=1
	s_andn2_b64 vcc, exec, s[36:37]
	s_mov_b64 s[76:77], -1
	s_cbranch_vccnz .LBB0_35
; %bb.29:                               ;   in Loop: Header=BB0_4 Depth=1
	s_and_saveexec_b64 s[76:77], s[0:1]
	s_cbranch_execz .LBB0_34
; %bb.30:                               ;   in Loop: Header=BB0_4 Depth=1
	v_mov_b32_e32 v5, s52
	v_add_co_u32_e32 v4, vcc, s53, v24
	v_addc_co_u32_e32 v5, vcc, v25, v5, vcc
	s_mov_b64 s[78:79], 0
	v_mov_b32_e32 v10, v0
	s_branch .LBB0_32
.LBB0_31:                               ;   in Loop: Header=BB0_32 Depth=2
	v_add_u32_e32 v10, s4, v10
	v_cmp_le_i32_e32 vcc, s86, v10
	s_waitcnt vmcnt(0)
	global_store_dword v[6:7], v11, off
	v_mov_b32_e32 v6, s61
	s_or_b64 s[78:79], vcc, s[78:79]
	v_add_co_u32_e32 v4, vcc, s60, v4
	v_addc_co_u32_e32 v5, vcc, v5, v6, vcc
	s_andn2_b64 exec, exec, s[78:79]
	s_cbranch_execz .LBB0_34
.LBB0_32:                               ;   Parent Loop BB0_4 Depth=1
                                        ; =>  This Loop Header: Depth=2
                                        ;       Child Loop BB0_33 Depth 3
	v_mad_i64_i32 v[6:7], s[44:45], v10, s20, 0
	v_lshlrev_b64 v[6:7], 2, v[6:7]
	v_mov_b32_e32 v8, s55
	v_add_co_u32_e32 v6, vcc, s54, v6
	v_addc_co_u32_e32 v7, vcc, v8, v7, vcc
	global_load_dword v11, v[6:7], off
	s_andn2_b64 vcc, exec, s[30:31]
	v_pk_mov_b32 v[8:9], v[4:5], v[4:5] op_sel:[0,1]
	s_mov_b64 s[80:81], s[74:75]
	s_mov_b64 s[82:83], s[72:73]
	s_mov_b32 s44, s91
	s_cbranch_vccnz .LBB0_31
.LBB0_33:                               ;   Parent Loop BB0_4 Depth=1
                                        ;     Parent Loop BB0_32 Depth=2
                                        ; =>    This Inner Loop Header: Depth=3
	global_load_dword v12, v33, s[80:81]
	global_load_dword v13, v[8:9], off
	global_load_dword v14, v33, s[82:83]
	s_add_i32 s44, s44, -1
	s_waitcnt vmcnt(3)
	v_mov_b32_e32 v15, v11
	s_add_u32 s82, s82, -4
	s_addc_u32 s83, s83, -1
	s_add_u32 s80, s80, -4
	s_addc_u32 s81, s81, -1
	s_cmp_lt_u32 s44, 3
	s_waitcnt vmcnt(2)
	v_mul_f32_e32 v16, v15, v12
	s_waitcnt vmcnt(1)
	v_mul_f32_e32 v11, v12, v13
	s_waitcnt vmcnt(0)
	v_fma_f32 v12, v14, v13, -v16
	global_store_dword v[8:9], v12, off
	v_add_co_u32_e32 v8, vcc, -4, v8
	v_fmac_f32_e32 v11, v15, v14
	v_addc_co_u32_e32 v9, vcc, -1, v9, vcc
	s_cbranch_scc0 .LBB0_33
	s_branch .LBB0_31
.LBB0_34:                               ;   in Loop: Header=BB0_4 Depth=1
	s_or_b64 exec, exec, s[76:77]
	s_mov_b64 s[76:77], 0
.LBB0_35:                               ;   in Loop: Header=BB0_4 Depth=1
	s_andn2_b64 vcc, exec, s[76:77]
	s_cbranch_vccnz .LBB0_3
; %bb.36:                               ;   in Loop: Header=BB0_4 Depth=1
	s_andn2_b64 vcc, exec, s[38:39]
	s_mov_b64 s[76:77], -1
	s_cbranch_vccnz .LBB0_43
; %bb.37:                               ;   in Loop: Header=BB0_4 Depth=1
	s_and_saveexec_b64 s[76:77], s[0:1]
	s_cbranch_execz .LBB0_42
; %bb.38:                               ;   in Loop: Header=BB0_4 Depth=1
	s_lshl_b64 s[44:45], s[26:27], 2
	s_add_u32 s44, s54, s44
	s_addc_u32 s45, s55, s45
	v_mov_b32_e32 v5, s52
	v_add_co_u32_e32 v4, vcc, s53, v18
	s_add_u32 s48, s44, -4
	v_addc_co_u32_e32 v5, vcc, v19, v5, vcc
	s_addc_u32 s49, s45, -1
	s_mov_b64 s[78:79], 0
	v_mov_b32_e32 v10, v0
	s_branch .LBB0_40
.LBB0_39:                               ;   in Loop: Header=BB0_40 Depth=2
	v_add_u32_e32 v10, s4, v10
	v_cmp_le_i32_e32 vcc, s86, v10
	s_waitcnt vmcnt(0)
	global_store_dword v[6:7], v11, off
	v_mov_b32_e32 v6, s61
	s_or_b64 s[78:79], vcc, s[78:79]
	v_add_co_u32_e32 v4, vcc, s60, v4
	v_addc_co_u32_e32 v5, vcc, v5, v6, vcc
	s_andn2_b64 exec, exec, s[78:79]
	s_cbranch_execz .LBB0_42
.LBB0_40:                               ;   Parent Loop BB0_4 Depth=1
                                        ; =>  This Loop Header: Depth=2
                                        ;       Child Loop BB0_41 Depth 3
	v_mad_i64_i32 v[6:7], s[44:45], v10, s20, 0
	v_lshlrev_b64 v[6:7], 2, v[6:7]
	v_mov_b32_e32 v8, s49
	v_add_co_u32_e32 v6, vcc, s48, v6
	v_addc_co_u32_e32 v7, vcc, v8, v7, vcc
	global_load_dword v11, v[6:7], off
	s_andn2_b64 vcc, exec, s[30:31]
	v_pk_mov_b32 v[8:9], v[4:5], v[4:5] op_sel:[0,1]
	s_mov_b64 s[80:81], s[70:71]
	s_mov_b64 s[82:83], s[68:69]
	s_mov_b32 s44, s56
	s_cbranch_vccnz .LBB0_39
.LBB0_41:                               ;   Parent Loop BB0_4 Depth=1
                                        ;     Parent Loop BB0_40 Depth=2
                                        ; =>    This Inner Loop Header: Depth=3
	global_load_dword v12, v[8:9], off
	global_load_dword v13, v33, s[82:83]
	global_load_dword v14, v33, s[80:81]
	s_add_i32 s44, s44, -1
	s_add_u32 s82, s82, 4
	s_addc_u32 s83, s83, 0
	s_add_u32 s80, s80, 4
	s_addc_u32 s81, s81, 0
	s_cmp_eq_u32 s44, 0
	s_waitcnt vmcnt(1)
	v_mul_f32_e32 v15, v13, v12
	s_waitcnt vmcnt(0)
	v_fmac_f32_e32 v15, v11, v14
	v_mul_f32_e32 v12, v14, v12
	global_store_dword v[8:9], v15, off
	v_add_co_u32_e32 v8, vcc, 4, v8
	v_fma_f32 v11, v11, v13, -v12
	v_addc_co_u32_e32 v9, vcc, 0, v9, vcc
	s_cbranch_scc0 .LBB0_41
	s_branch .LBB0_39
.LBB0_42:                               ;   in Loop: Header=BB0_4 Depth=1
	s_or_b64 exec, exec, s[76:77]
	s_mov_b64 s[76:77], 0
.LBB0_43:                               ;   in Loop: Header=BB0_4 Depth=1
	s_andn2_b64 vcc, exec, s[76:77]
	s_cbranch_vccnz .LBB0_3
; %bb.44:                               ;   in Loop: Header=BB0_4 Depth=1
	s_andn2_b64 vcc, exec, s[40:41]
	s_mov_b64 s[76:77], -1
	s_cbranch_vccnz .LBB0_51
; %bb.45:                               ;   in Loop: Header=BB0_4 Depth=1
	s_and_saveexec_b64 s[76:77], s[0:1]
	s_cbranch_execz .LBB0_50
; %bb.46:                               ;   in Loop: Header=BB0_4 Depth=1
	s_lshl_b64 s[44:45], s[26:27], 2
	s_add_u32 s44, s54, s44
	s_addc_u32 s45, s55, s45
	v_mov_b32_e32 v5, s52
	v_add_co_u32_e32 v4, vcc, s53, v20
	s_add_u32 s48, s44, -4
	v_addc_co_u32_e32 v5, vcc, v21, v5, vcc
	s_addc_u32 s49, s45, -1
	s_mov_b64 s[78:79], 0
	v_mov_b32_e32 v10, v0
	s_branch .LBB0_48
.LBB0_47:                               ;   in Loop: Header=BB0_48 Depth=2
	v_add_u32_e32 v10, s4, v10
	v_cmp_le_i32_e32 vcc, s86, v10
	s_waitcnt vmcnt(0)
	global_store_dword v[6:7], v11, off
	v_mov_b32_e32 v6, s61
	s_or_b64 s[78:79], vcc, s[78:79]
	v_add_co_u32_e32 v4, vcc, s60, v4
	v_addc_co_u32_e32 v5, vcc, v5, v6, vcc
	s_andn2_b64 exec, exec, s[78:79]
	s_cbranch_execz .LBB0_50
.LBB0_48:                               ;   Parent Loop BB0_4 Depth=1
                                        ; =>  This Loop Header: Depth=2
                                        ;       Child Loop BB0_49 Depth 3
	v_mad_i64_i32 v[6:7], s[44:45], v10, s20, 0
	v_lshlrev_b64 v[6:7], 2, v[6:7]
	v_mov_b32_e32 v8, s49
	v_add_co_u32_e32 v6, vcc, s48, v6
	v_addc_co_u32_e32 v7, vcc, v8, v7, vcc
	global_load_dword v11, v[6:7], off
	s_andn2_b64 vcc, exec, s[30:31]
	v_pk_mov_b32 v[8:9], v[4:5], v[4:5] op_sel:[0,1]
	s_mov_b64 s[80:81], s[74:75]
	s_mov_b64 s[82:83], s[72:73]
	s_mov_b32 s44, s56
	s_cbranch_vccnz .LBB0_47
.LBB0_49:                               ;   Parent Loop BB0_4 Depth=1
                                        ;     Parent Loop BB0_48 Depth=2
                                        ; =>    This Inner Loop Header: Depth=3
	global_load_dword v12, v[8:9], off
	global_load_dword v13, v33, s[82:83]
	global_load_dword v14, v33, s[80:81]
	s_add_i32 s44, s44, -1
	s_add_u32 s82, s82, -4
	s_addc_u32 s83, s83, -1
	s_add_u32 s80, s80, -4
	s_addc_u32 s81, s81, -1
	s_cmp_eq_u32 s44, 0
	s_waitcnt vmcnt(1)
	v_mul_f32_e32 v15, v13, v12
	s_waitcnt vmcnt(0)
	v_fmac_f32_e32 v15, v11, v14
	v_mul_f32_e32 v12, v14, v12
	global_store_dword v[8:9], v15, off
	v_add_co_u32_e32 v8, vcc, -4, v8
	v_fma_f32 v11, v11, v13, -v12
	v_addc_co_u32_e32 v9, vcc, -1, v9, vcc
	s_cbranch_scc0 .LBB0_49
	s_branch .LBB0_47
.LBB0_50:                               ;   in Loop: Header=BB0_4 Depth=1
	s_or_b64 exec, exec, s[76:77]
	s_mov_b64 s[76:77], 0
.LBB0_51:                               ;   in Loop: Header=BB0_4 Depth=1
	s_andn2_b64 vcc, exec, s[76:77]
	s_cbranch_vccnz .LBB0_3
; %bb.52:                               ;   in Loop: Header=BB0_4 Depth=1
	v_mov_b32_e32 v5, s52
	v_add_co_u32_e32 v4, vcc, s53, v1
	v_addc_co_u32_e32 v5, vcc, v26, v5, vcc
	s_andn2_b64 vcc, exec, s[42:43]
	s_mov_b64 s[72:73], -1
	s_cbranch_vccnz .LBB0_59
; %bb.53:                               ;   in Loop: Header=BB0_4 Depth=1
	s_and_saveexec_b64 s[72:73], s[2:3]
	s_cbranch_execz .LBB0_58
; %bb.54:                               ;   in Loop: Header=BB0_4 Depth=1
	s_lshl_b64 s[44:45], s[62:63], 2
	s_add_u32 s80, s54, s44
	s_addc_u32 s48, s55, s45
	s_mov_b64 s[74:75], 0
	v_pk_mov_b32 v[6:7], v[4:5], v[4:5] op_sel:[0,1]
	v_mov_b32_e32 v8, v0
	s_branch .LBB0_56
.LBB0_55:                               ;   in Loop: Header=BB0_56 Depth=2
	v_mov_b32_e32 v12, s48
	v_add_co_u32_e32 v10, vcc, s80, v10
	v_addc_co_u32_e32 v11, vcc, v12, v11, vcc
	v_add_u32_e32 v8, s4, v8
	v_cmp_le_i32_e32 vcc, s19, v8
	s_waitcnt vmcnt(0)
	global_store_dword v[10:11], v9, off
	v_mov_b32_e32 v9, s67
	s_or_b64 s[74:75], vcc, s[74:75]
	v_add_co_u32_e32 v6, vcc, s66, v6
	v_addc_co_u32_e32 v7, vcc, v7, v9, vcc
	s_andn2_b64 exec, exec, s[74:75]
	s_cbranch_execz .LBB0_58
.LBB0_56:                               ;   Parent Loop BB0_4 Depth=1
                                        ; =>  This Loop Header: Depth=2
                                        ;       Child Loop BB0_57 Depth 3
	v_ashrrev_i32_e32 v9, 31, v8
	v_lshlrev_b64 v[10:11], 2, v[8:9]
	v_mov_b32_e32 v9, s55
	v_add_co_u32_e32 v12, vcc, s54, v10
	v_addc_co_u32_e32 v13, vcc, v9, v11, vcc
	global_load_dword v9, v[12:13], off
	s_andn2_b64 vcc, exec, s[46:47]
	s_mov_b64 s[76:77], s[70:71]
	s_mov_b64 s[78:79], s[68:69]
	v_pk_mov_b32 v[12:13], v[6:7], v[6:7] op_sel:[0,1]
	s_mov_b32 s44, s18
	s_cbranch_vccnz .LBB0_55
.LBB0_57:                               ;   Parent Loop BB0_4 Depth=1
                                        ;     Parent Loop BB0_56 Depth=2
                                        ; =>    This Inner Loop Header: Depth=3
	v_mov_b32_e32 v15, s65
	v_add_co_u32_e32 v14, vcc, s64, v12
	global_load_dword v16, v33, s[76:77]
	v_addc_co_u32_e32 v15, vcc, v13, v15, vcc
	global_load_dword v17, v[14:15], off
	global_load_dword v35, v33, s[78:79]
	s_add_i32 s44, s44, -1
	s_add_u32 s78, s78, 4
	s_addc_u32 s79, s79, 0
	s_add_u32 s76, s76, 4
	s_addc_u32 s77, s77, 0
	s_cmp_eq_u32 s44, 0
	s_waitcnt vmcnt(2)
	v_mul_f32_e32 v36, v9, v16
	s_waitcnt vmcnt(1)
	v_mul_f32_e32 v16, v16, v17
	s_waitcnt vmcnt(0)
	v_fmac_f32_e32 v16, v9, v35
	v_fma_f32 v9, v35, v17, -v36
	global_store_dword v[12:13], v16, off
	v_pk_mov_b32 v[12:13], v[14:15], v[14:15] op_sel:[0,1]
	s_cbranch_scc0 .LBB0_57
	s_branch .LBB0_55
.LBB0_58:                               ;   in Loop: Header=BB0_4 Depth=1
	s_or_b64 exec, exec, s[72:73]
	s_mov_b64 s[72:73], 0
.LBB0_59:                               ;   in Loop: Header=BB0_4 Depth=1
	s_andn2_b64 vcc, exec, s[72:73]
	s_cbranch_vccnz .LBB0_3
; %bb.60:                               ;   in Loop: Header=BB0_4 Depth=1
	v_mov_b32_e32 v7, s52
	v_add_co_u32_e32 v6, vcc, s53, v29
	s_add_u32 s72, s5, s85
	v_addc_co_u32_e32 v7, vcc, v30, v7, vcc
	s_addc_u32 s73, s57, s84
	v_mov_b32_e32 v9, s52
	v_add_co_u32_e32 v8, vcc, s53, v27
	v_readlane_b32 s44, v42, 0
	s_add_u32 s74, s92, s51
	v_addc_co_u32_e32 v9, vcc, v28, v9, vcc
	v_readlane_b32 s45, v42, 1
	s_addc_u32 s75, s93, s50
	s_andn2_b64 vcc, exec, s[44:45]
	s_mov_b64 s[76:77], -1
	s_cbranch_vccnz .LBB0_68
; %bb.61:                               ;   in Loop: Header=BB0_4 Depth=1
	s_and_saveexec_b64 s[76:77], s[2:3]
	s_cbranch_execz .LBB0_67
; %bb.62:                               ;   in Loop: Header=BB0_4 Depth=1
	s_lshl_b64 s[44:45], s[62:63], 2
	s_add_u32 s50, s54, s44
	s_addc_u32 s51, s55, s45
	s_mov_b64 s[78:79], 0
	v_pk_mov_b32 v[10:11], v[6:7], v[6:7] op_sel:[0,1]
	v_pk_mov_b32 v[12:13], v[8:9], v[8:9] op_sel:[0,1]
	v_mov_b32_e32 v14, v0
	s_branch .LBB0_64
.LBB0_63:                               ;   in Loop: Header=BB0_64 Depth=2
	v_mov_b32_e32 v35, s55
	v_add_co_u32_e32 v16, vcc, s54, v16
	v_addc_co_u32_e32 v17, vcc, v35, v17, vcc
	s_waitcnt vmcnt(0)
	global_store_dword v[16:17], v15, off
	v_mov_b32_e32 v15, s67
	v_add_co_u32_e32 v12, vcc, s66, v12
	v_add_u32_e32 v14, s4, v14
	v_addc_co_u32_e32 v13, vcc, v13, v15, vcc
	v_cmp_le_i32_e32 vcc, s19, v14
	s_or_b64 s[78:79], vcc, s[78:79]
	v_add_co_u32_e32 v10, vcc, s66, v10
	v_addc_co_u32_e32 v11, vcc, v11, v15, vcc
	s_andn2_b64 exec, exec, s[78:79]
	s_cbranch_execz .LBB0_67
.LBB0_64:                               ;   Parent Loop BB0_4 Depth=1
                                        ; =>  This Loop Header: Depth=2
                                        ;       Child Loop BB0_66 Depth 3
	v_ashrrev_i32_e32 v15, 31, v14
	v_lshlrev_b64 v[16:17], 2, v[14:15]
	v_mov_b32_e32 v15, s51
	v_add_co_u32_e32 v36, vcc, s50, v16
	v_addc_co_u32_e32 v37, vcc, v15, v17, vcc
	global_load_dword v15, v[36:37], off
	s_andn2_b64 vcc, exec, s[46:47]
	s_cbranch_vccnz .LBB0_63
; %bb.65:                               ;   in Loop: Header=BB0_64 Depth=2
	s_mov_b64 s[80:81], 0
	s_mov_b64 s[82:83], s[74:75]
	;; [unrolled: 1-line block ×3, first 2 shown]
	s_mov_b32 s48, s18
.LBB0_66:                               ;   Parent Loop BB0_4 Depth=1
                                        ;     Parent Loop BB0_64 Depth=2
                                        ; =>    This Inner Loop Header: Depth=3
	v_mov_b32_e32 v39, s81
	v_add_co_u32_e32 v36, vcc, s80, v10
	v_addc_co_u32_e32 v37, vcc, v11, v39, vcc
	global_load_dword v35, v33, s[84:85]
	global_load_dword v38, v33, s[82:83]
	global_load_dword v40, v[36:37], off
	s_add_i32 s48, s48, -1
	v_add_co_u32_e32 v36, vcc, s80, v12
	s_sub_u32 s80, s80, s64
	s_subb_u32 s81, s81, s65
	s_add_u32 s84, s84, -4
	s_addc_u32 s85, s85, -1
	s_add_u32 s82, s82, -4
	s_waitcnt vmcnt(3)
	v_mov_b32_e32 v41, v15
	v_addc_co_u32_e32 v37, vcc, v13, v39, vcc
	s_addc_u32 s83, s83, -1
	s_cmp_eq_u32 s48, 0
	s_waitcnt vmcnt(0)
	v_mul_f32_e32 v39, v38, v40
	v_mul_f32_e32 v15, v35, v40
	v_fma_f32 v35, v41, v35, -v39
	v_fmac_f32_e32 v15, v41, v38
	global_store_dword v[36:37], v35, off
	s_cbranch_scc0 .LBB0_66
	s_branch .LBB0_63
.LBB0_67:                               ;   in Loop: Header=BB0_4 Depth=1
	s_or_b64 exec, exec, s[76:77]
	s_mov_b64 s[76:77], 0
.LBB0_68:                               ;   in Loop: Header=BB0_4 Depth=1
	s_andn2_b64 vcc, exec, s[76:77]
	s_cbranch_vccnz .LBB0_3
; %bb.69:                               ;   in Loop: Header=BB0_4 Depth=1
	v_readlane_b32 s44, v42, 2
	v_readlane_b32 s45, v42, 3
	s_andn2_b64 vcc, exec, s[44:45]
	s_mov_b64 s[76:77], -1
	s_cbranch_vccnz .LBB0_76
; %bb.70:                               ;   in Loop: Header=BB0_4 Depth=1
	s_and_saveexec_b64 s[76:77], s[2:3]
	s_cbranch_execz .LBB0_75
; %bb.71:                               ;   in Loop: Header=BB0_4 Depth=1
	v_mov_b32_e32 v11, s52
	v_add_co_u32_e32 v10, vcc, s53, v31
	v_addc_co_u32_e32 v11, vcc, v32, v11, vcc
	s_mov_b64 s[78:79], 0
	v_mov_b32_e32 v12, v0
	s_branch .LBB0_73
.LBB0_72:                               ;   in Loop: Header=BB0_73 Depth=2
	v_add_u32_e32 v12, s4, v12
	v_cmp_le_i32_e32 vcc, s19, v12
	s_waitcnt vmcnt(0)
	global_store_dword v[14:15], v13, off
	v_mov_b32_e32 v13, s67
	s_or_b64 s[78:79], vcc, s[78:79]
	v_add_co_u32_e32 v10, vcc, s66, v10
	v_addc_co_u32_e32 v11, vcc, v11, v13, vcc
	s_andn2_b64 exec, exec, s[78:79]
	s_cbranch_execz .LBB0_75
.LBB0_73:                               ;   Parent Loop BB0_4 Depth=1
                                        ; =>  This Loop Header: Depth=2
                                        ;       Child Loop BB0_74 Depth 3
	v_ashrrev_i32_e32 v13, 31, v12
	v_lshlrev_b64 v[14:15], 2, v[12:13]
	v_mov_b32_e32 v13, s55
	v_add_co_u32_e32 v14, vcc, s54, v14
	v_addc_co_u32_e32 v15, vcc, v13, v15, vcc
	global_load_dword v13, v[14:15], off
	s_andn2_b64 vcc, exec, s[46:47]
	v_pk_mov_b32 v[16:17], v[10:11], v[10:11] op_sel:[0,1]
	s_mov_b32 s48, s18
	s_mov_b64 s[80:81], s[68:69]
	s_mov_b64 s[82:83], s[70:71]
	s_cbranch_vccnz .LBB0_72
.LBB0_74:                               ;   Parent Loop BB0_4 Depth=1
                                        ;     Parent Loop BB0_73 Depth=2
                                        ; =>    This Inner Loop Header: Depth=3
	global_load_dword v35, v33, s[82:83]
	global_load_dword v36, v[16:17], off
	global_load_dword v37, v33, s[80:81]
	s_waitcnt vmcnt(3)
	v_mov_b32_e32 v38, v13
	s_add_u32 s82, s82, 4
	s_addc_u32 s83, s83, 0
	s_add_u32 s80, s80, 4
	v_mov_b32_e32 v39, s65
	s_addc_u32 s81, s81, 0
	s_add_i32 s48, s48, -1
	s_cmp_eq_u32 s48, 0
	s_waitcnt vmcnt(2)
	v_mul_f32_e32 v40, v38, v35
	s_waitcnt vmcnt(1)
	v_mul_f32_e32 v13, v35, v36
	s_waitcnt vmcnt(0)
	v_fma_f32 v35, v37, v36, -v40
	global_store_dword v[16:17], v35, off
	v_add_co_u32_e32 v16, vcc, s64, v16
	v_fmac_f32_e32 v13, v38, v37
	v_addc_co_u32_e32 v17, vcc, v17, v39, vcc
	s_cbranch_scc0 .LBB0_74
	s_branch .LBB0_72
.LBB0_75:                               ;   in Loop: Header=BB0_4 Depth=1
	s_or_b64 exec, exec, s[76:77]
	s_mov_b64 s[76:77], 0
.LBB0_76:                               ;   in Loop: Header=BB0_4 Depth=1
	s_andn2_b64 vcc, exec, s[76:77]
	s_cbranch_vccnz .LBB0_3
; %bb.77:                               ;   in Loop: Header=BB0_4 Depth=1
	v_readlane_b32 s44, v42, 4
	v_readlane_b32 s45, v42, 5
	s_andn2_b64 vcc, exec, s[44:45]
	s_mov_b64 s[76:77], -1
	s_cbranch_vccnz .LBB0_84
; %bb.78:                               ;   in Loop: Header=BB0_4 Depth=1
	s_and_saveexec_b64 s[76:77], s[2:3]
	s_cbranch_execz .LBB0_83
; %bb.79:                               ;   in Loop: Header=BB0_4 Depth=1
	s_mov_b64 s[78:79], 0
	v_mov_b32_e32 v10, v0
	s_branch .LBB0_81
.LBB0_80:                               ;   in Loop: Header=BB0_81 Depth=2
	v_add_u32_e32 v10, s4, v10
	v_cmp_le_i32_e32 vcc, s19, v10
	s_waitcnt vmcnt(0)
	global_store_dword v[12:13], v11, off
	v_mov_b32_e32 v11, s67
	s_or_b64 s[78:79], vcc, s[78:79]
	v_add_co_u32_e32 v8, vcc, s66, v8
	v_addc_co_u32_e32 v9, vcc, v9, v11, vcc
	s_andn2_b64 exec, exec, s[78:79]
	s_cbranch_execz .LBB0_83
.LBB0_81:                               ;   Parent Loop BB0_4 Depth=1
                                        ; =>  This Loop Header: Depth=2
                                        ;       Child Loop BB0_82 Depth 3
	v_ashrrev_i32_e32 v11, 31, v10
	v_lshlrev_b64 v[12:13], 2, v[10:11]
	v_mov_b32_e32 v11, s55
	v_add_co_u32_e32 v12, vcc, s54, v12
	v_addc_co_u32_e32 v13, vcc, v11, v13, vcc
	global_load_dword v11, v[12:13], off
	s_andn2_b64 vcc, exec, s[46:47]
	v_pk_mov_b32 v[14:15], v[8:9], v[8:9] op_sel:[0,1]
	s_mov_b64 s[80:81], s[74:75]
	s_mov_b64 s[82:83], s[72:73]
	s_mov_b32 s48, s21
	s_cbranch_vccnz .LBB0_80
.LBB0_82:                               ;   Parent Loop BB0_4 Depth=1
                                        ;     Parent Loop BB0_81 Depth=2
                                        ; =>    This Inner Loop Header: Depth=3
	global_load_dword v16, v33, s[80:81]
	global_load_dword v17, v[14:15], off
	global_load_dword v35, v33, s[82:83]
	s_add_i32 s48, s48, -1
	s_waitcnt vmcnt(3)
	v_mov_b32_e32 v36, v11
	s_add_u32 s82, s82, -4
	s_addc_u32 s83, s83, -1
	s_add_u32 s80, s80, -4
	v_mov_b32_e32 v37, s95
	s_addc_u32 s81, s81, -1
	s_cmp_lt_u32 s48, 3
	s_waitcnt vmcnt(2)
	v_mul_f32_e32 v38, v36, v16
	s_waitcnt vmcnt(1)
	v_mul_f32_e32 v11, v16, v17
	s_waitcnt vmcnt(0)
	v_fma_f32 v16, v35, v17, -v38
	global_store_dword v[14:15], v16, off
	v_add_co_u32_e32 v14, vcc, s94, v14
	v_fmac_f32_e32 v11, v36, v35
	v_addc_co_u32_e32 v15, vcc, v15, v37, vcc
	s_cbranch_scc0 .LBB0_82
	s_branch .LBB0_80
.LBB0_83:                               ;   in Loop: Header=BB0_4 Depth=1
	s_or_b64 exec, exec, s[76:77]
	s_mov_b64 s[76:77], 0
.LBB0_84:                               ;   in Loop: Header=BB0_4 Depth=1
	s_andn2_b64 vcc, exec, s[76:77]
	s_cbranch_vccnz .LBB0_3
; %bb.85:                               ;   in Loop: Header=BB0_4 Depth=1
	v_readlane_b32 s44, v42, 6
	v_readlane_b32 s45, v42, 7
	s_andn2_b64 vcc, exec, s[44:45]
	s_mov_b64 s[76:77], -1
	s_cbranch_vccnz .LBB0_92
; %bb.86:                               ;   in Loop: Header=BB0_4 Depth=1
	s_and_saveexec_b64 s[76:77], s[2:3]
	s_cbranch_execz .LBB0_91
; %bb.87:                               ;   in Loop: Header=BB0_4 Depth=1
	s_lshl_b64 s[44:45], s[62:63], 2
	s_add_u32 s50, s54, s44
	s_addc_u32 s48, s55, s45
	s_mov_b64 s[78:79], 0
	v_mov_b32_e32 v8, v0
	s_branch .LBB0_89
.LBB0_88:                               ;   in Loop: Header=BB0_89 Depth=2
	v_add_u32_e32 v8, s4, v8
	v_cmp_le_i32_e32 vcc, s19, v8
	s_waitcnt vmcnt(0)
	global_store_dword v[10:11], v9, off
	v_mov_b32_e32 v9, s67
	s_or_b64 s[78:79], vcc, s[78:79]
	v_add_co_u32_e32 v4, vcc, s66, v4
	v_addc_co_u32_e32 v5, vcc, v5, v9, vcc
	s_andn2_b64 exec, exec, s[78:79]
	s_cbranch_execz .LBB0_91
.LBB0_89:                               ;   Parent Loop BB0_4 Depth=1
                                        ; =>  This Loop Header: Depth=2
                                        ;       Child Loop BB0_90 Depth 3
	v_ashrrev_i32_e32 v9, 31, v8
	v_lshlrev_b64 v[10:11], 2, v[8:9]
	v_mov_b32_e32 v9, s48
	v_add_co_u32_e32 v10, vcc, s50, v10
	v_addc_co_u32_e32 v11, vcc, v9, v11, vcc
	global_load_dword v9, v[10:11], off
	s_andn2_b64 vcc, exec, s[46:47]
	v_pk_mov_b32 v[12:13], v[4:5], v[4:5] op_sel:[0,1]
	s_mov_b64 s[80:81], s[70:71]
	s_mov_b64 s[82:83], s[68:69]
	s_mov_b32 s49, s18
	s_cbranch_vccnz .LBB0_88
.LBB0_90:                               ;   Parent Loop BB0_4 Depth=1
                                        ;     Parent Loop BB0_89 Depth=2
                                        ; =>    This Inner Loop Header: Depth=3
	global_load_dword v14, v[12:13], off
	global_load_dword v15, v33, s[82:83]
	global_load_dword v16, v33, s[80:81]
	s_add_i32 s49, s49, -1
	s_add_u32 s82, s82, 4
	s_addc_u32 s83, s83, 0
	s_add_u32 s80, s80, 4
	v_mov_b32_e32 v17, s65
	s_addc_u32 s81, s81, 0
	s_cmp_eq_u32 s49, 0
	s_waitcnt vmcnt(1)
	v_mul_f32_e32 v35, v15, v14
	s_waitcnt vmcnt(0)
	v_fmac_f32_e32 v35, v9, v16
	v_mul_f32_e32 v14, v16, v14
	global_store_dword v[12:13], v35, off
	v_add_co_u32_e32 v12, vcc, s64, v12
	v_fma_f32 v9, v9, v15, -v14
	v_addc_co_u32_e32 v13, vcc, v13, v17, vcc
	s_cbranch_scc0 .LBB0_90
	s_branch .LBB0_88
.LBB0_91:                               ;   in Loop: Header=BB0_4 Depth=1
	s_or_b64 exec, exec, s[76:77]
	s_mov_b64 s[76:77], 0
.LBB0_92:                               ;   in Loop: Header=BB0_4 Depth=1
	s_andn2_b64 vcc, exec, s[76:77]
	s_cbranch_vccnz .LBB0_3
; %bb.93:                               ;   in Loop: Header=BB0_4 Depth=1
	s_mov_b64 s[68:69], exec
	v_readlane_b32 s44, v42, 8
	v_readlane_b32 s45, v42, 9
	s_and_b64 s[44:45], s[68:69], s[44:45]
	s_mov_b64 exec, s[44:45]
	s_cbranch_execz .LBB0_2
; %bb.94:                               ;   in Loop: Header=BB0_4 Depth=1
	s_lshl_b64 s[44:45], s[62:63], 2
	s_add_u32 s50, s54, s44
	s_addc_u32 s48, s55, s45
	s_mov_b64 s[70:71], 0
	v_mov_b32_e32 v4, v0
	s_branch .LBB0_96
.LBB0_95:                               ;   in Loop: Header=BB0_96 Depth=2
	v_add_u32_e32 v4, s4, v4
	v_cmp_le_i32_e32 vcc, s19, v4
	s_waitcnt vmcnt(0)
	global_store_dword v[8:9], v5, off
	v_mov_b32_e32 v5, s67
	s_or_b64 s[70:71], vcc, s[70:71]
	v_add_co_u32_e32 v6, vcc, s66, v6
	v_addc_co_u32_e32 v7, vcc, v7, v5, vcc
	s_andn2_b64 exec, exec, s[70:71]
	s_cbranch_execz .LBB0_2
.LBB0_96:                               ;   Parent Loop BB0_4 Depth=1
                                        ; =>  This Loop Header: Depth=2
                                        ;       Child Loop BB0_97 Depth 3
	v_ashrrev_i32_e32 v5, 31, v4
	v_lshlrev_b64 v[8:9], 2, v[4:5]
	v_mov_b32_e32 v5, s48
	v_add_co_u32_e32 v8, vcc, s50, v8
	v_addc_co_u32_e32 v9, vcc, v5, v9, vcc
	global_load_dword v5, v[8:9], off
	s_andn2_b64 vcc, exec, s[46:47]
	v_pk_mov_b32 v[10:11], v[6:7], v[6:7] op_sel:[0,1]
	s_mov_b64 s[76:77], s[74:75]
	s_mov_b64 s[78:79], s[72:73]
	s_mov_b32 s49, s18
	s_cbranch_vccnz .LBB0_95
.LBB0_97:                               ;   Parent Loop BB0_4 Depth=1
                                        ;     Parent Loop BB0_96 Depth=2
                                        ; =>    This Inner Loop Header: Depth=3
	global_load_dword v12, v[10:11], off
	global_load_dword v13, v33, s[78:79]
	global_load_dword v14, v33, s[76:77]
	s_add_i32 s49, s49, -1
	s_add_u32 s78, s78, -4
	s_addc_u32 s79, s79, -1
	s_add_u32 s76, s76, -4
	v_mov_b32_e32 v15, s95
	s_addc_u32 s77, s77, -1
	s_cmp_eq_u32 s49, 0
	s_waitcnt vmcnt(1)
	v_mul_f32_e32 v16, v13, v12
	s_waitcnt vmcnt(0)
	v_fmac_f32_e32 v16, v5, v14
	v_mul_f32_e32 v12, v14, v12
	global_store_dword v[10:11], v16, off
	v_add_co_u32_e32 v10, vcc, s94, v10
	v_fma_f32 v5, v5, v13, -v12
	v_addc_co_u32_e32 v11, vcc, v11, v15, vcc
	s_cbranch_scc0 .LBB0_97
	s_branch .LBB0_95
.LBB0_98:
	s_endpgm
	.section	.rodata,"a",@progbits
	.p2align	6, 0x0
	.amdhsa_kernel _ZN9rocsolver6v33100L11lasr_kernelIffPfiEEv13rocblas_side_14rocblas_pivot_15rocblas_direct_T2_S6_PT0_lS8_lT1_lS6_lS6_
		.amdhsa_group_segment_fixed_size 0
		.amdhsa_private_segment_fixed_size 0
		.amdhsa_kernarg_size 352
		.amdhsa_user_sgpr_count 6
		.amdhsa_user_sgpr_private_segment_buffer 1
		.amdhsa_user_sgpr_dispatch_ptr 0
		.amdhsa_user_sgpr_queue_ptr 0
		.amdhsa_user_sgpr_kernarg_segment_ptr 1
		.amdhsa_user_sgpr_dispatch_id 0
		.amdhsa_user_sgpr_flat_scratch_init 0
		.amdhsa_user_sgpr_kernarg_preload_length 0
		.amdhsa_user_sgpr_kernarg_preload_offset 0
		.amdhsa_user_sgpr_private_segment_size 0
		.amdhsa_uses_dynamic_stack 0
		.amdhsa_system_sgpr_private_segment_wavefront_offset 0
		.amdhsa_system_sgpr_workgroup_id_x 1
		.amdhsa_system_sgpr_workgroup_id_y 0
		.amdhsa_system_sgpr_workgroup_id_z 1
		.amdhsa_system_sgpr_workgroup_info 0
		.amdhsa_system_vgpr_workitem_id 0
		.amdhsa_next_free_vgpr 43
		.amdhsa_next_free_sgpr 96
		.amdhsa_accum_offset 44
		.amdhsa_reserve_vcc 1
		.amdhsa_reserve_flat_scratch 0
		.amdhsa_float_round_mode_32 0
		.amdhsa_float_round_mode_16_64 0
		.amdhsa_float_denorm_mode_32 3
		.amdhsa_float_denorm_mode_16_64 3
		.amdhsa_dx10_clamp 1
		.amdhsa_ieee_mode 1
		.amdhsa_fp16_overflow 0
		.amdhsa_tg_split 0
		.amdhsa_exception_fp_ieee_invalid_op 0
		.amdhsa_exception_fp_denorm_src 0
		.amdhsa_exception_fp_ieee_div_zero 0
		.amdhsa_exception_fp_ieee_overflow 0
		.amdhsa_exception_fp_ieee_underflow 0
		.amdhsa_exception_fp_ieee_inexact 0
		.amdhsa_exception_int_div_zero 0
	.end_amdhsa_kernel
	.section	.text._ZN9rocsolver6v33100L11lasr_kernelIffPfiEEv13rocblas_side_14rocblas_pivot_15rocblas_direct_T2_S6_PT0_lS8_lT1_lS6_lS6_,"axG",@progbits,_ZN9rocsolver6v33100L11lasr_kernelIffPfiEEv13rocblas_side_14rocblas_pivot_15rocblas_direct_T2_S6_PT0_lS8_lT1_lS6_lS6_,comdat
.Lfunc_end0:
	.size	_ZN9rocsolver6v33100L11lasr_kernelIffPfiEEv13rocblas_side_14rocblas_pivot_15rocblas_direct_T2_S6_PT0_lS8_lT1_lS6_lS6_, .Lfunc_end0-_ZN9rocsolver6v33100L11lasr_kernelIffPfiEEv13rocblas_side_14rocblas_pivot_15rocblas_direct_T2_S6_PT0_lS8_lT1_lS6_lS6_
                                        ; -- End function
	.section	.AMDGPU.csdata,"",@progbits
; Kernel info:
; codeLenInByte = 4508
; NumSgprs: 100
; NumVgprs: 43
; NumAgprs: 0
; TotalNumVgprs: 43
; ScratchSize: 0
; MemoryBound: 0
; FloatMode: 240
; IeeeMode: 1
; LDSByteSize: 0 bytes/workgroup (compile time only)
; SGPRBlocks: 12
; VGPRBlocks: 5
; NumSGPRsForWavesPerEU: 100
; NumVGPRsForWavesPerEU: 43
; AccumOffset: 44
; Occupancy: 8
; WaveLimiterHint : 0
; COMPUTE_PGM_RSRC2:SCRATCH_EN: 0
; COMPUTE_PGM_RSRC2:USER_SGPR: 6
; COMPUTE_PGM_RSRC2:TRAP_HANDLER: 0
; COMPUTE_PGM_RSRC2:TGID_X_EN: 1
; COMPUTE_PGM_RSRC2:TGID_Y_EN: 0
; COMPUTE_PGM_RSRC2:TGID_Z_EN: 1
; COMPUTE_PGM_RSRC2:TIDIG_COMP_CNT: 0
; COMPUTE_PGM_RSRC3_GFX90A:ACCUM_OFFSET: 10
; COMPUTE_PGM_RSRC3_GFX90A:TG_SPLIT: 0
	.section	.text._ZN9rocsolver6v33100L11lasr_kernelIddPdiEEv13rocblas_side_14rocblas_pivot_15rocblas_direct_T2_S6_PT0_lS8_lT1_lS6_lS6_,"axG",@progbits,_ZN9rocsolver6v33100L11lasr_kernelIddPdiEEv13rocblas_side_14rocblas_pivot_15rocblas_direct_T2_S6_PT0_lS8_lT1_lS6_lS6_,comdat
	.globl	_ZN9rocsolver6v33100L11lasr_kernelIddPdiEEv13rocblas_side_14rocblas_pivot_15rocblas_direct_T2_S6_PT0_lS8_lT1_lS6_lS6_ ; -- Begin function _ZN9rocsolver6v33100L11lasr_kernelIddPdiEEv13rocblas_side_14rocblas_pivot_15rocblas_direct_T2_S6_PT0_lS8_lT1_lS6_lS6_
	.p2align	8
	.type	_ZN9rocsolver6v33100L11lasr_kernelIddPdiEEv13rocblas_side_14rocblas_pivot_15rocblas_direct_T2_S6_PT0_lS8_lT1_lS6_lS6_,@function
_ZN9rocsolver6v33100L11lasr_kernelIddPdiEEv13rocblas_side_14rocblas_pivot_15rocblas_direct_T2_S6_PT0_lS8_lT1_lS6_lS6_: ; @_ZN9rocsolver6v33100L11lasr_kernelIddPdiEEv13rocblas_side_14rocblas_pivot_15rocblas_direct_T2_S6_PT0_lS8_lT1_lS6_lS6_
; %bb.0:
	s_load_dword s33, s[4:5], 0x58
	s_waitcnt lgkmcnt(0)
	s_cmp_ge_u32 s7, s33
	s_cbranch_scc1 .LBB1_98
; %bb.1:
	s_load_dwordx4 s[0:3], s[4:5], 0x38
	s_load_dword s20, s[4:5], 0x48
	s_load_dwordx2 s[22:23], s[4:5], 0x50
	s_load_dword s26, s[4:5], 0x60
	s_load_dwordx2 s[24:25], s[4:5], 0x68
	s_load_dwordx4 s[16:19], s[4:5], 0x0
	s_load_dword s86, s[4:5], 0x10
	s_load_dwordx8 s[8:15], s[4:5], 0x18
	s_waitcnt lgkmcnt(0)
	s_ashr_i32 s21, s20, 31
	s_and_b32 s5, s25, 0xffff
	s_mul_i32 s6, s6, s5
	s_lshl_b64 s[2:3], s[2:3], 3
	v_add_u32_e32 v0, s6, v0
	s_add_u32 s6, s0, s2
	s_addc_u32 s25, s1, s3
	s_cmpk_lg_i32 s16, 0x8d
	s_cselect_b64 s[38:39], -1, 0
	s_cmpk_lg_i32 s16, 0x8e
	s_cselect_b64 s[44:45], -1, 0
	;; [unrolled: 2-line block ×6, first 2 shown]
	s_or_b64 s[28:29], s[38:39], s[42:43]
	s_or_b64 s[16:17], s[28:29], s[52:53]
	s_xor_b64 s[16:17], s[16:17], -1
	s_ashr_i32 s27, s19, 31
	s_add_i32 s62, s19, -2
	s_cmpk_lg_i32 s18, 0xac
	s_cselect_b64 s[54:55], -1, 0
	s_or_b64 s[28:29], s[28:29], s[54:55]
	s_xor_b64 s[28:29], s[28:29], -1
	s_cmp_gt_i32 s19, 1
	s_cselect_b64 s[30:31], -1, 0
	s_or_b64 s[36:37], s[38:39], s[50:51]
	s_or_b64 s[40:41], s[38:39], s[48:49]
	;; [unrolled: 1-line block ×9, first 2 shown]
	s_xor_b64 s[34:35], s[34:35], -1
	s_xor_b64 s[36:37], s[36:37], -1
	;; [unrolled: 1-line block ×5, first 2 shown]
	s_add_i32 s18, s86, -1
	s_xor_b64 s[46:47], s[46:47], -1
                                        ; implicit-def: $vgpr37 : SGPR spill to VGPR lane
	s_add_i32 s68, s86, -2
	v_writelane_b32 v37, s46, 0
	s_cmp_gt_i32 s86, 1
	v_writelane_b32 v37, s47, 1
	s_cselect_b64 s[46:47], -1, 0
	s_or_b64 s[50:51], s[44:45], s[50:51]
	s_or_b64 s[56:57], s[50:51], s[52:53]
	s_xor_b64 s[56:57], s[56:57], -1
	v_writelane_b32 v37, s56, 2
	s_or_b64 s[50:51], s[50:51], s[54:55]
	v_writelane_b32 v37, s57, 3
	s_xor_b64 s[50:51], s[50:51], -1
	s_or_b64 s[44:45], s[44:45], s[48:49]
	v_writelane_b32 v37, s50, 4
	s_or_b64 s[48:49], s[44:45], s[52:53]
	v_writelane_b32 v37, s51, 5
	s_xor_b64 s[48:49], s[48:49], -1
	v_writelane_b32 v37, s48, 6
	v_cmp_le_i32_e32 vcc, s19, v0
	v_writelane_b32 v37, s49, 7
	s_or_b64 s[48:49], s[54:55], vcc
	s_or_b64 s[44:45], s[44:45], s[48:49]
	s_xor_b64 s[44:45], s[44:45], -1
	v_writelane_b32 v37, s44, 8
	s_mul_i32 s4, s26, s5
	v_writelane_b32 v37, s45, 9
	v_mad_i64_i32 v[2:3], s[44:45], s20, v0, 0
	s_mul_hi_i32 s45, s20, s4
	s_mul_i32 s44, s20, s4
	s_mov_b32 s63, 0
	s_add_i32 s56, s19, -1
	s_lshl_b64 s[58:59], s[22:23], 3
	s_ashr_i32 s5, s4, 31
	s_lshl_b64 s[60:61], s[44:45], 3
	s_lshl_b64 s[10:11], s[10:11], 3
	;; [unrolled: 1-line block ×4, first 2 shown]
	s_add_u32 s87, s8, s44
	s_addc_u32 s88, s9, s45
	s_add_u32 s89, s12, s44
	s_addc_u32 s90, s13, s45
	s_mov_b32 s57, s63
	s_add_u32 s26, s0, s44
	s_addc_u32 s48, s1, s45
	s_add_i32 s91, s19, 1
	s_lshl_b64 s[44:45], s[56:57], 3
	s_add_u32 s49, s0, s44
	v_lshlrev_b64 v[2:3], 3, v[2:3]
	s_addc_u32 s50, s1, s45
	s_mul_i32 s44, s21, s18
	s_mul_hi_u32 s45, s20, s18
	s_mul_i32 s62, s20, s18
	v_mov_b32_e32 v1, s3
	v_add_co_u32_e32 v4, vcc, s2, v2
	s_add_i32 s45, s45, s44
	s_mov_b32 s44, s62
	v_addc_co_u32_e32 v1, vcc, v3, v1, vcc
	s_lshl_b64 s[44:45], s[44:45], 3
	s_lshl_b64 s[64:65], s[20:21], 3
	;; [unrolled: 1-line block ×3, first 2 shown]
	s_add_u32 s5, s44, s2
	v_mov_b32_e32 v2, s1
	v_add_co_u32_e32 v20, vcc, s0, v4
	s_addc_u32 s44, s45, s3
	v_addc_co_u32_e32 v21, vcc, v2, v1, vcc
	s_mov_b32 s69, s63
	s_add_u32 s51, s0, s5
	v_add_co_u32_e32 v2, vcc, 8, v20
	s_addc_u32 s52, s1, s44
	s_lshl_b64 s[44:45], s[68:69], 3
	v_addc_co_u32_e32 v3, vcc, 0, v21, vcc
	s_add_u32 s5, s8, s44
	v_mov_b32_e32 v5, s48
	v_add_co_u32_e32 v22, vcc, s26, v4
	s_addc_u32 s57, s9, s45
	v_addc_co_u32_e32 v23, vcc, v5, v1, vcc
	s_add_u32 s92, s12, s44
	s_mul_i32 s21, s21, s68
	s_mul_hi_u32 s44, s20, s68
	v_add_co_u32_e32 v24, vcc, 8, v22
	s_addc_u32 s93, s13, s45
	s_add_i32 s45, s44, s21
	s_mul_i32 s44, s20, s68
	v_addc_co_u32_e32 v25, vcc, 0, v23, vcc
	s_lshl_b64 s[44:45], s[44:45], 3
	v_mov_b32_e32 v5, s50
	v_add_co_u32_e32 v26, vcc, s49, v4
	s_add_u32 s21, s44, s2
	v_addc_co_u32_e32 v27, vcc, v5, v1, vcc
	v_ashrrev_i32_e32 v1, 31, v0
	s_addc_u32 s44, s45, s3
	v_lshlrev_b64 v[4:5], 3, v[0:1]
	s_add_u32 s21, s0, s21
	v_mov_b32_e32 v6, s25
	v_add_co_u32_e32 v1, vcc, s6, v4
	s_addc_u32 s44, s1, s44
	v_addc_co_u32_e32 v28, vcc, v6, v5, vcc
	s_add_u32 s2, s2, s64
	v_mov_b32_e32 v6, s52
	v_add_co_u32_e32 v29, vcc, s51, v4
	s_addc_u32 s3, s3, s65
	v_addc_co_u32_e32 v30, vcc, v6, v5, vcc
	;; [unrolled: 5-line block ×3, first 2 shown]
	s_add_i32 s21, s86, 1
	v_mov_b32_e32 v6, s1
	v_add_co_u32_e32 v33, vcc, s2, v4
	s_sub_u32 s94, 0, s64
	v_addc_co_u32_e32 v34, vcc, v6, v5, vcc
	s_mov_b32 s26, s19
	s_mul_hi_i32 s63, s20, s18
	v_mov_b32_e32 v35, 0
	v_mov_b32_e32 v36, s61
	s_subb_u32 s95, 0, s65
	v_cmp_gt_i32_e64 s[0:1], s86, v0
	v_cmp_gt_i32_e64 s[2:3], s19, v0
	s_branch .LBB1_4
.LBB1_2:                                ;   in Loop: Header=BB1_4 Depth=1
	s_or_b64 exec, exec, s[68:69]
.LBB1_3:                                ;   in Loop: Header=BB1_4 Depth=1
	s_add_i32 s7, s7, s24
	s_cmp_ge_u32 s7, s33
	s_cbranch_scc1 .LBB1_98
.LBB1_4:                                ; =>This Loop Header: Depth=1
                                        ;     Child Loop BB1_8 Depth 2
                                        ;       Child Loop BB1_9 Depth 3
                                        ;     Child Loop BB1_16 Depth 2
                                        ;       Child Loop BB1_17 Depth 3
	;; [unrolled: 2-line block ×12, first 2 shown]
	s_mul_i32 s44, s11, s7
	s_mul_hi_u32 s45, s10, s7
	s_add_i32 s84, s45, s44
	s_mul_i32 s44, s15, s7
	s_mul_hi_u32 s45, s14, s7
	s_mul_i32 s85, s10, s7
	s_add_i32 s50, s45, s44
	s_add_u32 s68, s8, s85
	v_mov_b32_e32 v4, s7
	s_mul_i32 s51, s14, s7
	s_addc_u32 s69, s9, s84
	v_mad_u64_u32 v[4:5], s[44:45], s58, v4, v[2:3]
	s_add_u32 s70, s12, s51
	s_mul_i32 s44, s7, s23
	s_mul_hi_u32 s45, s7, s22
	s_addc_u32 s71, s13, s50
	s_add_i32 s45, s45, s44
	s_mul_i32 s44, s7, s22
	s_lshl_b64 s[44:45], s[44:45], 3
	s_mul_i32 s52, s59, s7
	s_add_u32 s54, s6, s44
	v_add_u32_e32 v5, s52, v5
	s_addc_u32 s55, s25, s45
	s_andn2_b64 vcc, exec, s[16:17]
	s_mov_b64 s[72:73], -1
	s_cbranch_vccnz .LBB1_11
; %bb.5:                                ;   in Loop: Header=BB1_4 Depth=1
	s_and_saveexec_b64 s[72:73], s[0:1]
	s_cbranch_execz .LBB1_10
; %bb.6:                                ;   in Loop: Header=BB1_4 Depth=1
	s_lshl_b64 s[44:45], s[26:27], 3
	s_add_u32 s44, s54, s44
	s_addc_u32 s45, s55, s45
	s_add_u32 s48, s44, -8
	s_addc_u32 s44, s45, -1
	s_mov_b64 s[74:75], 0
	v_mov_b32_e32 v14, s55
	v_mov_b32_e32 v15, s44
	v_pk_mov_b32 v[6:7], v[4:5], v[4:5] op_sel:[0,1]
	v_mov_b32_e32 v16, v0
	s_branch .LBB1_8
.LBB1_7:                                ;   in Loop: Header=BB1_8 Depth=2
	v_add_co_u32_e32 v8, vcc, s48, v8
	v_addc_co_u32_e32 v9, vcc, v15, v9, vcc
	v_add_u32_e32 v16, s4, v16
	v_cmp_le_i32_e32 vcc, s86, v16
	s_or_b64 s[74:75], vcc, s[74:75]
	v_add_co_u32_e32 v6, vcc, s60, v6
	v_addc_co_u32_e32 v7, vcc, v7, v36, vcc
	s_waitcnt vmcnt(0)
	global_store_dwordx2 v[8:9], v[10:11], off
	s_andn2_b64 exec, exec, s[74:75]
	s_cbranch_execz .LBB1_10
.LBB1_8:                                ;   Parent Loop BB1_4 Depth=1
                                        ; =>  This Loop Header: Depth=2
                                        ;       Child Loop BB1_9 Depth 3
	v_mad_i64_i32 v[8:9], s[44:45], v16, s20, 0
	v_lshlrev_b64 v[8:9], 3, v[8:9]
	v_add_co_u32_e32 v10, vcc, s54, v8
	v_addc_co_u32_e32 v11, vcc, v14, v9, vcc
	global_load_dwordx2 v[10:11], v[10:11], off
	s_andn2_b64 vcc, exec, s[30:31]
	s_mov_b64 s[76:77], s[70:71]
	s_mov_b64 s[78:79], s[68:69]
	v_pk_mov_b32 v[12:13], v[6:7], v[6:7] op_sel:[0,1]
	s_mov_b32 s44, s56
	s_cbranch_vccnz .LBB1_7
.LBB1_9:                                ;   Parent Loop BB1_4 Depth=1
                                        ;     Parent Loop BB1_8 Depth=2
                                        ; =>    This Inner Loop Header: Depth=3
	global_load_dwordx2 v[18:19], v35, s[76:77]
	global_load_dwordx2 v[38:39], v[12:13], off
	global_load_dwordx2 v[40:41], v35, s[78:79]
	s_add_i32 s44, s44, -1
	s_add_u32 s78, s78, 8
	s_addc_u32 s79, s79, 0
	s_add_u32 s76, s76, 8
	s_addc_u32 s77, s77, 0
	s_cmp_eq_u32 s44, 0
	s_waitcnt vmcnt(1)
	v_mul_f64 v[42:43], v[18:19], v[38:39]
	s_waitcnt vmcnt(0)
	v_fmac_f64_e32 v[42:43], v[10:11], v[40:41]
	v_mul_f64 v[18:19], v[10:11], v[18:19]
	global_store_dwordx2 v[12:13], v[42:43], off offset:-8
	v_add_co_u32_e32 v12, vcc, 8, v12
	v_fma_f64 v[10:11], v[40:41], v[38:39], -v[18:19]
	v_addc_co_u32_e32 v13, vcc, 0, v13, vcc
	s_cbranch_scc0 .LBB1_9
	s_branch .LBB1_7
.LBB1_10:                               ;   in Loop: Header=BB1_4 Depth=1
	s_or_b64 exec, exec, s[72:73]
	s_mov_b64 s[72:73], 0
.LBB1_11:                               ;   in Loop: Header=BB1_4 Depth=1
	s_andn2_b64 vcc, exec, s[72:73]
	s_cbranch_vccnz .LBB1_3
; %bb.12:                               ;   in Loop: Header=BB1_4 Depth=1
	s_mul_hi_u32 s44, s58, s7
	s_add_i32 s52, s44, s52
	s_add_u32 s72, s87, s85
	s_addc_u32 s73, s88, s84
	s_add_u32 s74, s89, s51
	s_mul_i32 s53, s58, s7
	s_addc_u32 s75, s90, s50
	s_andn2_b64 vcc, exec, s[28:29]
	s_mov_b64 s[76:77], -1
	s_cbranch_vccnz .LBB1_19
; %bb.13:                               ;   in Loop: Header=BB1_4 Depth=1
	s_and_saveexec_b64 s[76:77], s[0:1]
	s_cbranch_execz .LBB1_18
; %bb.14:                               ;   in Loop: Header=BB1_4 Depth=1
	s_lshl_b64 s[44:45], s[26:27], 3
	s_add_u32 s44, s54, s44
	s_addc_u32 s45, s55, s45
	v_mov_b32_e32 v7, s52
	v_add_co_u32_e32 v6, vcc, s53, v24
	s_add_u32 s48, s44, -8
	v_addc_co_u32_e32 v7, vcc, v25, v7, vcc
	s_addc_u32 s49, s45, -1
	s_mov_b64 s[78:79], 0
	v_mov_b32_e32 v14, v0
	s_branch .LBB1_16
.LBB1_15:                               ;   in Loop: Header=BB1_16 Depth=2
	v_mov_b32_e32 v10, s55
	v_add_co_u32_e32 v8, vcc, s54, v8
	v_addc_co_u32_e32 v9, vcc, v10, v9, vcc
	v_add_u32_e32 v14, s4, v14
	v_cmp_le_i32_e32 vcc, s86, v14
	s_waitcnt vmcnt(0)
	global_store_dwordx2 v[8:9], v[12:13], off
	v_mov_b32_e32 v8, s61
	s_or_b64 s[78:79], vcc, s[78:79]
	v_add_co_u32_e32 v6, vcc, s60, v6
	v_addc_co_u32_e32 v7, vcc, v7, v8, vcc
	s_andn2_b64 exec, exec, s[78:79]
	s_cbranch_execz .LBB1_18
.LBB1_16:                               ;   Parent Loop BB1_4 Depth=1
                                        ; =>  This Loop Header: Depth=2
                                        ;       Child Loop BB1_17 Depth 3
	v_mad_i64_i32 v[8:9], s[44:45], v14, s20, 0
	v_lshlrev_b64 v[8:9], 3, v[8:9]
	v_mov_b32_e32 v11, s49
	v_add_co_u32_e32 v10, vcc, s48, v8
	v_addc_co_u32_e32 v11, vcc, v11, v9, vcc
	global_load_dwordx2 v[12:13], v[10:11], off
	s_andn2_b64 vcc, exec, s[30:31]
	v_pk_mov_b32 v[10:11], v[6:7], v[6:7] op_sel:[0,1]
	s_mov_b64 s[80:81], s[74:75]
	s_mov_b64 s[82:83], s[72:73]
	s_mov_b32 s44, s56
	s_cbranch_vccnz .LBB1_15
.LBB1_17:                               ;   Parent Loop BB1_4 Depth=1
                                        ;     Parent Loop BB1_16 Depth=2
                                        ; =>    This Inner Loop Header: Depth=3
	global_load_dwordx2 v[16:17], v[10:11], off offset:-8
	global_load_dwordx2 v[18:19], v35, s[80:81]
	global_load_dwordx2 v[38:39], v35, s[82:83]
	s_add_i32 s44, s44, -1
	s_add_u32 s82, s82, -8
	s_addc_u32 s83, s83, -1
	s_waitcnt vmcnt(3)
	v_pk_mov_b32 v[40:41], v[12:13], v[12:13] op_sel:[0,1]
	v_add_co_u32_e32 v42, vcc, -8, v10
	s_add_u32 s80, s80, -8
	v_addc_co_u32_e32 v43, vcc, -1, v11, vcc
	s_addc_u32 s81, s81, -1
	s_cmp_eq_u32 s44, 0
	s_waitcnt vmcnt(1)
	v_mul_f64 v[44:45], v[18:19], v[16:17]
	s_waitcnt vmcnt(0)
	v_mul_f64 v[12:13], v[38:39], v[16:17]
	v_fma_f64 v[16:17], v[40:41], v[38:39], -v[44:45]
	v_fmac_f64_e32 v[12:13], v[40:41], v[18:19]
	global_store_dwordx2 v[10:11], v[16:17], off
	v_pk_mov_b32 v[10:11], v[42:43], v[42:43] op_sel:[0,1]
	s_cbranch_scc0 .LBB1_17
	s_branch .LBB1_15
.LBB1_18:                               ;   in Loop: Header=BB1_4 Depth=1
	s_or_b64 exec, exec, s[76:77]
	s_mov_b64 s[76:77], 0
.LBB1_19:                               ;   in Loop: Header=BB1_4 Depth=1
	s_andn2_b64 vcc, exec, s[76:77]
	s_cbranch_vccnz .LBB1_3
; %bb.20:                               ;   in Loop: Header=BB1_4 Depth=1
	s_andn2_b64 vcc, exec, s[34:35]
	s_mov_b64 s[76:77], -1
	s_cbranch_vccnz .LBB1_27
; %bb.21:                               ;   in Loop: Header=BB1_4 Depth=1
	s_and_saveexec_b64 s[76:77], s[0:1]
	s_cbranch_execz .LBB1_26
; %bb.22:                               ;   in Loop: Header=BB1_4 Depth=1
	s_mov_b64 s[78:79], 0
	v_mov_b32_e32 v12, v0
	s_branch .LBB1_24
.LBB1_23:                               ;   in Loop: Header=BB1_24 Depth=2
	v_add_u32_e32 v12, s4, v12
	v_cmp_le_i32_e32 vcc, s86, v12
	s_waitcnt vmcnt(0)
	global_store_dwordx2 v[6:7], v[10:11], off
	v_mov_b32_e32 v6, s61
	s_or_b64 s[78:79], vcc, s[78:79]
	v_add_co_u32_e32 v4, vcc, s60, v4
	v_addc_co_u32_e32 v5, vcc, v5, v6, vcc
	s_andn2_b64 exec, exec, s[78:79]
	s_cbranch_execz .LBB1_26
.LBB1_24:                               ;   Parent Loop BB1_4 Depth=1
                                        ; =>  This Loop Header: Depth=2
                                        ;       Child Loop BB1_25 Depth 3
	v_mad_i64_i32 v[6:7], s[44:45], v12, s20, 0
	v_lshlrev_b64 v[6:7], 3, v[6:7]
	v_mov_b32_e32 v8, s55
	v_add_co_u32_e32 v6, vcc, s54, v6
	v_addc_co_u32_e32 v7, vcc, v8, v7, vcc
	global_load_dwordx2 v[10:11], v[6:7], off
	s_andn2_b64 vcc, exec, s[30:31]
	v_pk_mov_b32 v[8:9], v[4:5], v[4:5] op_sel:[0,1]
	s_mov_b32 s44, s56
	s_mov_b64 s[80:81], s[68:69]
	s_mov_b64 s[82:83], s[70:71]
	s_cbranch_vccnz .LBB1_23
.LBB1_25:                               ;   Parent Loop BB1_4 Depth=1
                                        ;     Parent Loop BB1_24 Depth=2
                                        ; =>    This Inner Loop Header: Depth=3
	global_load_dwordx2 v[14:15], v35, s[82:83]
	global_load_dwordx2 v[16:17], v[8:9], off
	global_load_dwordx2 v[18:19], v35, s[80:81]
	s_waitcnt vmcnt(3)
	v_pk_mov_b32 v[38:39], v[10:11], v[10:11] op_sel:[0,1]
	s_add_u32 s82, s82, 8
	s_addc_u32 s83, s83, 0
	s_add_u32 s80, s80, 8
	s_addc_u32 s81, s81, 0
	s_add_i32 s44, s44, -1
	s_cmp_eq_u32 s44, 0
	s_waitcnt vmcnt(2)
	v_mul_f64 v[40:41], v[38:39], v[14:15]
	s_waitcnt vmcnt(1)
	v_mul_f64 v[10:11], v[14:15], v[16:17]
	s_waitcnt vmcnt(0)
	v_fma_f64 v[14:15], v[18:19], v[16:17], -v[40:41]
	global_store_dwordx2 v[8:9], v[14:15], off
	v_add_co_u32_e32 v8, vcc, 8, v8
	v_fmac_f64_e32 v[10:11], v[38:39], v[18:19]
	v_addc_co_u32_e32 v9, vcc, 0, v9, vcc
	s_cbranch_scc0 .LBB1_25
	s_branch .LBB1_23
.LBB1_26:                               ;   in Loop: Header=BB1_4 Depth=1
	s_or_b64 exec, exec, s[76:77]
	s_mov_b64 s[76:77], 0
.LBB1_27:                               ;   in Loop: Header=BB1_4 Depth=1
	s_andn2_b64 vcc, exec, s[76:77]
	s_cbranch_vccnz .LBB1_3
; %bb.28:                               ;   in Loop: Header=BB1_4 Depth=1
	s_andn2_b64 vcc, exec, s[36:37]
	s_mov_b64 s[76:77], -1
	s_cbranch_vccnz .LBB1_35
; %bb.29:                               ;   in Loop: Header=BB1_4 Depth=1
	s_and_saveexec_b64 s[76:77], s[0:1]
	s_cbranch_execz .LBB1_34
; %bb.30:                               ;   in Loop: Header=BB1_4 Depth=1
	v_mov_b32_e32 v5, s52
	v_add_co_u32_e32 v4, vcc, s53, v26
	v_addc_co_u32_e32 v5, vcc, v27, v5, vcc
	s_mov_b64 s[78:79], 0
	v_mov_b32_e32 v12, v0
	s_branch .LBB1_32
.LBB1_31:                               ;   in Loop: Header=BB1_32 Depth=2
	v_add_u32_e32 v12, s4, v12
	v_cmp_le_i32_e32 vcc, s86, v12
	s_waitcnt vmcnt(0)
	global_store_dwordx2 v[6:7], v[10:11], off
	v_mov_b32_e32 v6, s61
	s_or_b64 s[78:79], vcc, s[78:79]
	v_add_co_u32_e32 v4, vcc, s60, v4
	v_addc_co_u32_e32 v5, vcc, v5, v6, vcc
	s_andn2_b64 exec, exec, s[78:79]
	s_cbranch_execz .LBB1_34
.LBB1_32:                               ;   Parent Loop BB1_4 Depth=1
                                        ; =>  This Loop Header: Depth=2
                                        ;       Child Loop BB1_33 Depth 3
	v_mad_i64_i32 v[6:7], s[44:45], v12, s20, 0
	v_lshlrev_b64 v[6:7], 3, v[6:7]
	v_mov_b32_e32 v8, s55
	v_add_co_u32_e32 v6, vcc, s54, v6
	v_addc_co_u32_e32 v7, vcc, v8, v7, vcc
	global_load_dwordx2 v[10:11], v[6:7], off
	s_andn2_b64 vcc, exec, s[30:31]
	v_pk_mov_b32 v[8:9], v[4:5], v[4:5] op_sel:[0,1]
	s_mov_b64 s[80:81], s[74:75]
	s_mov_b64 s[82:83], s[72:73]
	s_mov_b32 s44, s91
	s_cbranch_vccnz .LBB1_31
.LBB1_33:                               ;   Parent Loop BB1_4 Depth=1
                                        ;     Parent Loop BB1_32 Depth=2
                                        ; =>    This Inner Loop Header: Depth=3
	global_load_dwordx2 v[14:15], v35, s[80:81]
	global_load_dwordx2 v[16:17], v[8:9], off
	global_load_dwordx2 v[18:19], v35, s[82:83]
	s_add_i32 s44, s44, -1
	s_waitcnt vmcnt(3)
	v_pk_mov_b32 v[38:39], v[10:11], v[10:11] op_sel:[0,1]
	s_add_u32 s82, s82, -8
	s_addc_u32 s83, s83, -1
	s_add_u32 s80, s80, -8
	s_addc_u32 s81, s81, -1
	s_cmp_lt_u32 s44, 3
	s_waitcnt vmcnt(2)
	v_mul_f64 v[40:41], v[38:39], v[14:15]
	s_waitcnt vmcnt(1)
	v_mul_f64 v[10:11], v[14:15], v[16:17]
	s_waitcnt vmcnt(0)
	v_fma_f64 v[14:15], v[18:19], v[16:17], -v[40:41]
	global_store_dwordx2 v[8:9], v[14:15], off
	v_add_co_u32_e32 v8, vcc, -8, v8
	v_fmac_f64_e32 v[10:11], v[38:39], v[18:19]
	v_addc_co_u32_e32 v9, vcc, -1, v9, vcc
	s_cbranch_scc0 .LBB1_33
	s_branch .LBB1_31
.LBB1_34:                               ;   in Loop: Header=BB1_4 Depth=1
	s_or_b64 exec, exec, s[76:77]
	s_mov_b64 s[76:77], 0
.LBB1_35:                               ;   in Loop: Header=BB1_4 Depth=1
	s_andn2_b64 vcc, exec, s[76:77]
	s_cbranch_vccnz .LBB1_3
; %bb.36:                               ;   in Loop: Header=BB1_4 Depth=1
	s_andn2_b64 vcc, exec, s[38:39]
	s_mov_b64 s[76:77], -1
	s_cbranch_vccnz .LBB1_43
; %bb.37:                               ;   in Loop: Header=BB1_4 Depth=1
	s_and_saveexec_b64 s[76:77], s[0:1]
	s_cbranch_execz .LBB1_42
; %bb.38:                               ;   in Loop: Header=BB1_4 Depth=1
	s_lshl_b64 s[44:45], s[26:27], 3
	s_add_u32 s44, s54, s44
	s_addc_u32 s45, s55, s45
	v_mov_b32_e32 v5, s52
	v_add_co_u32_e32 v4, vcc, s53, v20
	s_add_u32 s48, s44, -8
	v_addc_co_u32_e32 v5, vcc, v21, v5, vcc
	s_addc_u32 s49, s45, -1
	s_mov_b64 s[78:79], 0
	v_mov_b32_e32 v12, v0
	s_branch .LBB1_40
.LBB1_39:                               ;   in Loop: Header=BB1_40 Depth=2
	v_add_u32_e32 v12, s4, v12
	v_cmp_le_i32_e32 vcc, s86, v12
	s_waitcnt vmcnt(0)
	global_store_dwordx2 v[6:7], v[8:9], off
	v_mov_b32_e32 v6, s61
	s_or_b64 s[78:79], vcc, s[78:79]
	v_add_co_u32_e32 v4, vcc, s60, v4
	v_addc_co_u32_e32 v5, vcc, v5, v6, vcc
	s_andn2_b64 exec, exec, s[78:79]
	s_cbranch_execz .LBB1_42
.LBB1_40:                               ;   Parent Loop BB1_4 Depth=1
                                        ; =>  This Loop Header: Depth=2
                                        ;       Child Loop BB1_41 Depth 3
	v_mad_i64_i32 v[6:7], s[44:45], v12, s20, 0
	v_lshlrev_b64 v[6:7], 3, v[6:7]
	v_mov_b32_e32 v8, s49
	v_add_co_u32_e32 v6, vcc, s48, v6
	v_addc_co_u32_e32 v7, vcc, v8, v7, vcc
	global_load_dwordx2 v[8:9], v[6:7], off
	s_andn2_b64 vcc, exec, s[30:31]
	v_pk_mov_b32 v[10:11], v[4:5], v[4:5] op_sel:[0,1]
	s_mov_b64 s[80:81], s[70:71]
	s_mov_b64 s[82:83], s[68:69]
	s_mov_b32 s44, s56
	s_cbranch_vccnz .LBB1_39
.LBB1_41:                               ;   Parent Loop BB1_4 Depth=1
                                        ;     Parent Loop BB1_40 Depth=2
                                        ; =>    This Inner Loop Header: Depth=3
	global_load_dwordx2 v[14:15], v[10:11], off
	global_load_dwordx2 v[16:17], v35, s[82:83]
	global_load_dwordx2 v[18:19], v35, s[80:81]
	s_add_i32 s44, s44, -1
	s_add_u32 s82, s82, 8
	s_addc_u32 s83, s83, 0
	s_add_u32 s80, s80, 8
	s_addc_u32 s81, s81, 0
	s_cmp_eq_u32 s44, 0
	s_waitcnt vmcnt(1)
	v_mul_f64 v[38:39], v[16:17], v[14:15]
	s_waitcnt vmcnt(0)
	v_fmac_f64_e32 v[38:39], v[8:9], v[18:19]
	v_mul_f64 v[14:15], v[18:19], v[14:15]
	global_store_dwordx2 v[10:11], v[38:39], off
	v_add_co_u32_e32 v10, vcc, 8, v10
	v_fma_f64 v[8:9], v[8:9], v[16:17], -v[14:15]
	v_addc_co_u32_e32 v11, vcc, 0, v11, vcc
	s_cbranch_scc0 .LBB1_41
	s_branch .LBB1_39
.LBB1_42:                               ;   in Loop: Header=BB1_4 Depth=1
	s_or_b64 exec, exec, s[76:77]
	s_mov_b64 s[76:77], 0
.LBB1_43:                               ;   in Loop: Header=BB1_4 Depth=1
	s_andn2_b64 vcc, exec, s[76:77]
	s_cbranch_vccnz .LBB1_3
; %bb.44:                               ;   in Loop: Header=BB1_4 Depth=1
	s_andn2_b64 vcc, exec, s[40:41]
	s_mov_b64 s[76:77], -1
	s_cbranch_vccnz .LBB1_51
; %bb.45:                               ;   in Loop: Header=BB1_4 Depth=1
	s_and_saveexec_b64 s[76:77], s[0:1]
	s_cbranch_execz .LBB1_50
; %bb.46:                               ;   in Loop: Header=BB1_4 Depth=1
	s_lshl_b64 s[44:45], s[26:27], 3
	s_add_u32 s44, s54, s44
	s_addc_u32 s45, s55, s45
	v_mov_b32_e32 v5, s52
	v_add_co_u32_e32 v4, vcc, s53, v22
	s_add_u32 s48, s44, -8
	v_addc_co_u32_e32 v5, vcc, v23, v5, vcc
	s_addc_u32 s49, s45, -1
	s_mov_b64 s[78:79], 0
	v_mov_b32_e32 v12, v0
	s_branch .LBB1_48
.LBB1_47:                               ;   in Loop: Header=BB1_48 Depth=2
	v_add_u32_e32 v12, s4, v12
	v_cmp_le_i32_e32 vcc, s86, v12
	s_waitcnt vmcnt(0)
	global_store_dwordx2 v[6:7], v[8:9], off
	v_mov_b32_e32 v6, s61
	s_or_b64 s[78:79], vcc, s[78:79]
	v_add_co_u32_e32 v4, vcc, s60, v4
	v_addc_co_u32_e32 v5, vcc, v5, v6, vcc
	s_andn2_b64 exec, exec, s[78:79]
	s_cbranch_execz .LBB1_50
.LBB1_48:                               ;   Parent Loop BB1_4 Depth=1
                                        ; =>  This Loop Header: Depth=2
                                        ;       Child Loop BB1_49 Depth 3
	v_mad_i64_i32 v[6:7], s[44:45], v12, s20, 0
	v_lshlrev_b64 v[6:7], 3, v[6:7]
	v_mov_b32_e32 v8, s49
	v_add_co_u32_e32 v6, vcc, s48, v6
	v_addc_co_u32_e32 v7, vcc, v8, v7, vcc
	global_load_dwordx2 v[8:9], v[6:7], off
	s_andn2_b64 vcc, exec, s[30:31]
	v_pk_mov_b32 v[10:11], v[4:5], v[4:5] op_sel:[0,1]
	s_mov_b64 s[80:81], s[74:75]
	s_mov_b64 s[82:83], s[72:73]
	s_mov_b32 s44, s56
	s_cbranch_vccnz .LBB1_47
.LBB1_49:                               ;   Parent Loop BB1_4 Depth=1
                                        ;     Parent Loop BB1_48 Depth=2
                                        ; =>    This Inner Loop Header: Depth=3
	global_load_dwordx2 v[14:15], v[10:11], off
	global_load_dwordx2 v[16:17], v35, s[82:83]
	global_load_dwordx2 v[18:19], v35, s[80:81]
	s_add_i32 s44, s44, -1
	s_add_u32 s82, s82, -8
	s_addc_u32 s83, s83, -1
	s_add_u32 s80, s80, -8
	s_addc_u32 s81, s81, -1
	s_cmp_eq_u32 s44, 0
	s_waitcnt vmcnt(1)
	v_mul_f64 v[38:39], v[16:17], v[14:15]
	s_waitcnt vmcnt(0)
	v_fmac_f64_e32 v[38:39], v[8:9], v[18:19]
	v_mul_f64 v[14:15], v[18:19], v[14:15]
	global_store_dwordx2 v[10:11], v[38:39], off
	v_add_co_u32_e32 v10, vcc, -8, v10
	v_fma_f64 v[8:9], v[8:9], v[16:17], -v[14:15]
	v_addc_co_u32_e32 v11, vcc, -1, v11, vcc
	s_cbranch_scc0 .LBB1_49
	s_branch .LBB1_47
.LBB1_50:                               ;   in Loop: Header=BB1_4 Depth=1
	s_or_b64 exec, exec, s[76:77]
	s_mov_b64 s[76:77], 0
.LBB1_51:                               ;   in Loop: Header=BB1_4 Depth=1
	s_andn2_b64 vcc, exec, s[76:77]
	s_cbranch_vccnz .LBB1_3
; %bb.52:                               ;   in Loop: Header=BB1_4 Depth=1
	v_mov_b32_e32 v5, s52
	v_add_co_u32_e32 v4, vcc, s53, v1
	v_addc_co_u32_e32 v5, vcc, v28, v5, vcc
	s_andn2_b64 vcc, exec, s[42:43]
	s_mov_b64 s[72:73], -1
	s_cbranch_vccnz .LBB1_59
; %bb.53:                               ;   in Loop: Header=BB1_4 Depth=1
	s_and_saveexec_b64 s[72:73], s[2:3]
	s_cbranch_execz .LBB1_58
; %bb.54:                               ;   in Loop: Header=BB1_4 Depth=1
	s_lshl_b64 s[44:45], s[62:63], 3
	s_add_u32 s48, s54, s44
	s_addc_u32 s49, s55, s45
	s_mov_b64 s[74:75], 0
	v_pk_mov_b32 v[6:7], v[4:5], v[4:5] op_sel:[0,1]
	v_mov_b32_e32 v8, v0
	s_branch .LBB1_56
.LBB1_55:                               ;   in Loop: Header=BB1_56 Depth=2
	v_mov_b32_e32 v9, s49
	v_add_co_u32_e32 v10, vcc, s48, v10
	v_addc_co_u32_e32 v11, vcc, v9, v11, vcc
	v_add_u32_e32 v8, s4, v8
	v_cmp_le_i32_e32 vcc, s19, v8
	v_mov_b32_e32 v9, s67
	s_or_b64 s[74:75], vcc, s[74:75]
	v_add_co_u32_e32 v6, vcc, s66, v6
	v_addc_co_u32_e32 v7, vcc, v7, v9, vcc
	s_waitcnt vmcnt(0)
	global_store_dwordx2 v[10:11], v[12:13], off
	s_andn2_b64 exec, exec, s[74:75]
	s_cbranch_execz .LBB1_58
.LBB1_56:                               ;   Parent Loop BB1_4 Depth=1
                                        ; =>  This Loop Header: Depth=2
                                        ;       Child Loop BB1_57 Depth 3
	v_ashrrev_i32_e32 v9, 31, v8
	v_lshlrev_b64 v[10:11], 3, v[8:9]
	v_mov_b32_e32 v9, s55
	v_add_co_u32_e32 v12, vcc, s54, v10
	v_addc_co_u32_e32 v13, vcc, v9, v11, vcc
	global_load_dwordx2 v[12:13], v[12:13], off
	s_andn2_b64 vcc, exec, s[46:47]
	s_mov_b64 s[76:77], s[70:71]
	s_mov_b64 s[78:79], s[68:69]
	v_pk_mov_b32 v[14:15], v[6:7], v[6:7] op_sel:[0,1]
	s_mov_b32 s44, s18
	s_cbranch_vccnz .LBB1_55
.LBB1_57:                               ;   Parent Loop BB1_4 Depth=1
                                        ;     Parent Loop BB1_56 Depth=2
                                        ; =>    This Inner Loop Header: Depth=3
	v_mov_b32_e32 v9, s65
	v_add_co_u32_e32 v18, vcc, s64, v14
	global_load_dwordx2 v[16:17], v35, s[76:77]
	v_addc_co_u32_e32 v19, vcc, v15, v9, vcc
	global_load_dwordx2 v[38:39], v[18:19], off
	global_load_dwordx2 v[40:41], v35, s[78:79]
	s_add_i32 s44, s44, -1
	s_add_u32 s78, s78, 8
	s_addc_u32 s79, s79, 0
	s_add_u32 s76, s76, 8
	s_addc_u32 s77, s77, 0
	s_cmp_eq_u32 s44, 0
	s_waitcnt vmcnt(2)
	v_mul_f64 v[42:43], v[12:13], v[16:17]
	s_waitcnt vmcnt(1)
	v_mul_f64 v[16:17], v[16:17], v[38:39]
	s_waitcnt vmcnt(0)
	v_fmac_f64_e32 v[16:17], v[12:13], v[40:41]
	v_fma_f64 v[12:13], v[40:41], v[38:39], -v[42:43]
	global_store_dwordx2 v[14:15], v[16:17], off
	v_pk_mov_b32 v[14:15], v[18:19], v[18:19] op_sel:[0,1]
	s_cbranch_scc0 .LBB1_57
	s_branch .LBB1_55
.LBB1_58:                               ;   in Loop: Header=BB1_4 Depth=1
	s_or_b64 exec, exec, s[72:73]
	s_mov_b64 s[72:73], 0
.LBB1_59:                               ;   in Loop: Header=BB1_4 Depth=1
	s_andn2_b64 vcc, exec, s[72:73]
	s_cbranch_vccnz .LBB1_3
; %bb.60:                               ;   in Loop: Header=BB1_4 Depth=1
	v_mov_b32_e32 v7, s52
	v_add_co_u32_e32 v6, vcc, s53, v31
	s_add_u32 s72, s5, s85
	v_addc_co_u32_e32 v7, vcc, v32, v7, vcc
	s_addc_u32 s73, s57, s84
	v_mov_b32_e32 v9, s52
	v_add_co_u32_e32 v8, vcc, s53, v29
	v_readlane_b32 s44, v37, 0
	s_add_u32 s74, s92, s51
	v_addc_co_u32_e32 v9, vcc, v30, v9, vcc
	v_readlane_b32 s45, v37, 1
	s_addc_u32 s75, s93, s50
	s_andn2_b64 vcc, exec, s[44:45]
	s_mov_b64 s[76:77], -1
	s_cbranch_vccnz .LBB1_68
; %bb.61:                               ;   in Loop: Header=BB1_4 Depth=1
	s_and_saveexec_b64 s[76:77], s[2:3]
	s_cbranch_execz .LBB1_67
; %bb.62:                               ;   in Loop: Header=BB1_4 Depth=1
	s_lshl_b64 s[44:45], s[62:63], 3
	s_add_u32 s50, s54, s44
	s_addc_u32 s51, s55, s45
	s_mov_b64 s[78:79], 0
	v_pk_mov_b32 v[10:11], v[6:7], v[6:7] op_sel:[0,1]
	v_pk_mov_b32 v[12:13], v[8:9], v[8:9] op_sel:[0,1]
	v_mov_b32_e32 v14, v0
	s_branch .LBB1_64
.LBB1_63:                               ;   in Loop: Header=BB1_64 Depth=2
	v_mov_b32_e32 v15, s55
	v_add_co_u32_e32 v16, vcc, s54, v16
	v_addc_co_u32_e32 v17, vcc, v15, v17, vcc
	v_mov_b32_e32 v15, s67
	v_add_co_u32_e32 v12, vcc, s66, v12
	v_add_u32_e32 v14, s4, v14
	v_addc_co_u32_e32 v13, vcc, v13, v15, vcc
	v_cmp_le_i32_e32 vcc, s19, v14
	s_or_b64 s[78:79], vcc, s[78:79]
	v_add_co_u32_e32 v10, vcc, s66, v10
	v_addc_co_u32_e32 v11, vcc, v11, v15, vcc
	s_waitcnt vmcnt(0)
	global_store_dwordx2 v[16:17], v[18:19], off
	s_andn2_b64 exec, exec, s[78:79]
	s_cbranch_execz .LBB1_67
.LBB1_64:                               ;   Parent Loop BB1_4 Depth=1
                                        ; =>  This Loop Header: Depth=2
                                        ;       Child Loop BB1_66 Depth 3
	v_ashrrev_i32_e32 v15, 31, v14
	v_lshlrev_b64 v[16:17], 3, v[14:15]
	v_mov_b32_e32 v15, s51
	v_add_co_u32_e32 v18, vcc, s50, v16
	v_addc_co_u32_e32 v19, vcc, v15, v17, vcc
	global_load_dwordx2 v[18:19], v[18:19], off
	s_andn2_b64 vcc, exec, s[46:47]
	s_cbranch_vccnz .LBB1_63
; %bb.65:                               ;   in Loop: Header=BB1_64 Depth=2
	s_mov_b64 s[80:81], 0
	s_mov_b64 s[82:83], s[74:75]
	;; [unrolled: 1-line block ×3, first 2 shown]
	s_mov_b32 s48, s18
.LBB1_66:                               ;   Parent Loop BB1_4 Depth=1
                                        ;     Parent Loop BB1_64 Depth=2
                                        ; =>    This Inner Loop Header: Depth=3
	v_mov_b32_e32 v15, s81
	v_add_co_u32_e32 v42, vcc, s80, v10
	v_addc_co_u32_e32 v43, vcc, v11, v15, vcc
	global_load_dwordx2 v[38:39], v35, s[84:85]
	global_load_dwordx2 v[40:41], v35, s[82:83]
	s_add_i32 s48, s48, -1
	global_load_dwordx2 v[42:43], v[42:43], off
	v_add_co_u32_e32 v46, vcc, s80, v12
	s_sub_u32 s80, s80, s64
	s_subb_u32 s81, s81, s65
	s_add_u32 s84, s84, -8
	s_addc_u32 s85, s85, -1
	s_add_u32 s82, s82, -8
	s_waitcnt vmcnt(3)
	v_pk_mov_b32 v[44:45], v[18:19], v[18:19] op_sel:[0,1]
	s_addc_u32 s83, s83, -1
	v_addc_co_u32_e32 v47, vcc, v13, v15, vcc
	s_cmp_eq_u32 s48, 0
	s_waitcnt vmcnt(0)
	v_mul_f64 v[48:49], v[40:41], v[42:43]
	v_mul_f64 v[18:19], v[38:39], v[42:43]
	v_fma_f64 v[38:39], v[44:45], v[38:39], -v[48:49]
	v_fmac_f64_e32 v[18:19], v[44:45], v[40:41]
	global_store_dwordx2 v[46:47], v[38:39], off
	s_cbranch_scc0 .LBB1_66
	s_branch .LBB1_63
.LBB1_67:                               ;   in Loop: Header=BB1_4 Depth=1
	s_or_b64 exec, exec, s[76:77]
	s_mov_b64 s[76:77], 0
.LBB1_68:                               ;   in Loop: Header=BB1_4 Depth=1
	s_andn2_b64 vcc, exec, s[76:77]
	s_cbranch_vccnz .LBB1_3
; %bb.69:                               ;   in Loop: Header=BB1_4 Depth=1
	v_readlane_b32 s44, v37, 2
	v_readlane_b32 s45, v37, 3
	s_andn2_b64 vcc, exec, s[44:45]
	s_mov_b64 s[76:77], -1
	s_cbranch_vccnz .LBB1_76
; %bb.70:                               ;   in Loop: Header=BB1_4 Depth=1
	s_and_saveexec_b64 s[76:77], s[2:3]
	s_cbranch_execz .LBB1_75
; %bb.71:                               ;   in Loop: Header=BB1_4 Depth=1
	v_mov_b32_e32 v11, s52
	v_add_co_u32_e32 v10, vcc, s53, v33
	v_addc_co_u32_e32 v11, vcc, v34, v11, vcc
	s_mov_b64 s[78:79], 0
	v_mov_b32_e32 v12, v0
	s_branch .LBB1_73
.LBB1_72:                               ;   in Loop: Header=BB1_73 Depth=2
	v_add_u32_e32 v12, s4, v12
	v_cmp_le_i32_e32 vcc, s19, v12
	v_mov_b32_e32 v13, s67
	s_or_b64 s[78:79], vcc, s[78:79]
	v_add_co_u32_e32 v10, vcc, s66, v10
	v_addc_co_u32_e32 v11, vcc, v11, v13, vcc
	s_waitcnt vmcnt(0)
	global_store_dwordx2 v[14:15], v[18:19], off
	s_andn2_b64 exec, exec, s[78:79]
	s_cbranch_execz .LBB1_75
.LBB1_73:                               ;   Parent Loop BB1_4 Depth=1
                                        ; =>  This Loop Header: Depth=2
                                        ;       Child Loop BB1_74 Depth 3
	v_ashrrev_i32_e32 v13, 31, v12
	v_lshlrev_b64 v[14:15], 3, v[12:13]
	v_mov_b32_e32 v13, s55
	v_add_co_u32_e32 v14, vcc, s54, v14
	v_addc_co_u32_e32 v15, vcc, v13, v15, vcc
	global_load_dwordx2 v[18:19], v[14:15], off
	s_andn2_b64 vcc, exec, s[46:47]
	v_pk_mov_b32 v[16:17], v[10:11], v[10:11] op_sel:[0,1]
	s_mov_b32 s48, s18
	s_mov_b64 s[80:81], s[68:69]
	s_mov_b64 s[82:83], s[70:71]
	s_cbranch_vccnz .LBB1_72
.LBB1_74:                               ;   Parent Loop BB1_4 Depth=1
                                        ;     Parent Loop BB1_73 Depth=2
                                        ; =>    This Inner Loop Header: Depth=3
	global_load_dwordx2 v[38:39], v35, s[82:83]
	global_load_dwordx2 v[40:41], v[16:17], off
	global_load_dwordx2 v[42:43], v35, s[80:81]
	s_waitcnt vmcnt(3)
	v_pk_mov_b32 v[44:45], v[18:19], v[18:19] op_sel:[0,1]
	s_add_u32 s82, s82, 8
	s_addc_u32 s83, s83, 0
	s_add_u32 s80, s80, 8
	v_mov_b32_e32 v13, s65
	s_addc_u32 s81, s81, 0
	s_add_i32 s48, s48, -1
	s_cmp_eq_u32 s48, 0
	s_waitcnt vmcnt(2)
	v_mul_f64 v[46:47], v[44:45], v[38:39]
	s_waitcnt vmcnt(1)
	v_mul_f64 v[18:19], v[38:39], v[40:41]
	s_waitcnt vmcnt(0)
	v_fma_f64 v[38:39], v[42:43], v[40:41], -v[46:47]
	global_store_dwordx2 v[16:17], v[38:39], off
	v_add_co_u32_e32 v16, vcc, s64, v16
	v_fmac_f64_e32 v[18:19], v[44:45], v[42:43]
	v_addc_co_u32_e32 v17, vcc, v17, v13, vcc
	s_cbranch_scc0 .LBB1_74
	s_branch .LBB1_72
.LBB1_75:                               ;   in Loop: Header=BB1_4 Depth=1
	s_or_b64 exec, exec, s[76:77]
	s_mov_b64 s[76:77], 0
.LBB1_76:                               ;   in Loop: Header=BB1_4 Depth=1
	s_andn2_b64 vcc, exec, s[76:77]
	s_cbranch_vccnz .LBB1_3
; %bb.77:                               ;   in Loop: Header=BB1_4 Depth=1
	v_readlane_b32 s44, v37, 4
	v_readlane_b32 s45, v37, 5
	s_andn2_b64 vcc, exec, s[44:45]
	s_mov_b64 s[76:77], -1
	s_cbranch_vccnz .LBB1_84
; %bb.78:                               ;   in Loop: Header=BB1_4 Depth=1
	s_and_saveexec_b64 s[76:77], s[2:3]
	s_cbranch_execz .LBB1_83
; %bb.79:                               ;   in Loop: Header=BB1_4 Depth=1
	s_mov_b64 s[78:79], 0
	v_mov_b32_e32 v10, v0
	s_branch .LBB1_81
.LBB1_80:                               ;   in Loop: Header=BB1_81 Depth=2
	v_add_u32_e32 v10, s4, v10
	v_cmp_le_i32_e32 vcc, s19, v10
	v_mov_b32_e32 v11, s67
	s_or_b64 s[78:79], vcc, s[78:79]
	v_add_co_u32_e32 v8, vcc, s66, v8
	v_addc_co_u32_e32 v9, vcc, v9, v11, vcc
	s_waitcnt vmcnt(0)
	global_store_dwordx2 v[12:13], v[16:17], off
	s_andn2_b64 exec, exec, s[78:79]
	s_cbranch_execz .LBB1_83
.LBB1_81:                               ;   Parent Loop BB1_4 Depth=1
                                        ; =>  This Loop Header: Depth=2
                                        ;       Child Loop BB1_82 Depth 3
	v_ashrrev_i32_e32 v11, 31, v10
	v_lshlrev_b64 v[12:13], 3, v[10:11]
	v_mov_b32_e32 v11, s55
	v_add_co_u32_e32 v12, vcc, s54, v12
	v_addc_co_u32_e32 v13, vcc, v11, v13, vcc
	global_load_dwordx2 v[16:17], v[12:13], off
	s_andn2_b64 vcc, exec, s[46:47]
	v_pk_mov_b32 v[14:15], v[8:9], v[8:9] op_sel:[0,1]
	s_mov_b64 s[80:81], s[74:75]
	s_mov_b64 s[82:83], s[72:73]
	s_mov_b32 s48, s21
	s_cbranch_vccnz .LBB1_80
.LBB1_82:                               ;   Parent Loop BB1_4 Depth=1
                                        ;     Parent Loop BB1_81 Depth=2
                                        ; =>    This Inner Loop Header: Depth=3
	global_load_dwordx2 v[18:19], v35, s[80:81]
	global_load_dwordx2 v[38:39], v[14:15], off
	global_load_dwordx2 v[40:41], v35, s[82:83]
	s_add_i32 s48, s48, -1
	s_waitcnt vmcnt(3)
	v_pk_mov_b32 v[42:43], v[16:17], v[16:17] op_sel:[0,1]
	s_add_u32 s82, s82, -8
	s_addc_u32 s83, s83, -1
	s_add_u32 s80, s80, -8
	v_mov_b32_e32 v11, s95
	s_addc_u32 s81, s81, -1
	s_cmp_lt_u32 s48, 3
	s_waitcnt vmcnt(2)
	v_mul_f64 v[44:45], v[42:43], v[18:19]
	s_waitcnt vmcnt(1)
	v_mul_f64 v[16:17], v[18:19], v[38:39]
	s_waitcnt vmcnt(0)
	v_fma_f64 v[18:19], v[40:41], v[38:39], -v[44:45]
	global_store_dwordx2 v[14:15], v[18:19], off
	v_add_co_u32_e32 v14, vcc, s94, v14
	v_fmac_f64_e32 v[16:17], v[42:43], v[40:41]
	v_addc_co_u32_e32 v15, vcc, v15, v11, vcc
	s_cbranch_scc0 .LBB1_82
	s_branch .LBB1_80
.LBB1_83:                               ;   in Loop: Header=BB1_4 Depth=1
	s_or_b64 exec, exec, s[76:77]
	s_mov_b64 s[76:77], 0
.LBB1_84:                               ;   in Loop: Header=BB1_4 Depth=1
	s_andn2_b64 vcc, exec, s[76:77]
	s_cbranch_vccnz .LBB1_3
; %bb.85:                               ;   in Loop: Header=BB1_4 Depth=1
	v_readlane_b32 s44, v37, 6
	v_readlane_b32 s45, v37, 7
	s_andn2_b64 vcc, exec, s[44:45]
	s_mov_b64 s[76:77], -1
	s_cbranch_vccnz .LBB1_92
; %bb.86:                               ;   in Loop: Header=BB1_4 Depth=1
	s_and_saveexec_b64 s[76:77], s[2:3]
	s_cbranch_execz .LBB1_91
; %bb.87:                               ;   in Loop: Header=BB1_4 Depth=1
	s_lshl_b64 s[44:45], s[62:63], 3
	s_add_u32 s48, s54, s44
	s_addc_u32 s49, s55, s45
	s_mov_b64 s[78:79], 0
	v_mov_b32_e32 v8, v0
	s_branch .LBB1_89
.LBB1_88:                               ;   in Loop: Header=BB1_89 Depth=2
	v_add_u32_e32 v8, s4, v8
	v_cmp_le_i32_e32 vcc, s19, v8
	v_mov_b32_e32 v9, s67
	s_or_b64 s[78:79], vcc, s[78:79]
	v_add_co_u32_e32 v4, vcc, s66, v4
	v_addc_co_u32_e32 v5, vcc, v5, v9, vcc
	s_waitcnt vmcnt(0)
	global_store_dwordx2 v[10:11], v[12:13], off
	s_andn2_b64 exec, exec, s[78:79]
	s_cbranch_execz .LBB1_91
.LBB1_89:                               ;   Parent Loop BB1_4 Depth=1
                                        ; =>  This Loop Header: Depth=2
                                        ;       Child Loop BB1_90 Depth 3
	v_ashrrev_i32_e32 v9, 31, v8
	v_lshlrev_b64 v[10:11], 3, v[8:9]
	v_mov_b32_e32 v9, s49
	v_add_co_u32_e32 v10, vcc, s48, v10
	v_addc_co_u32_e32 v11, vcc, v9, v11, vcc
	global_load_dwordx2 v[12:13], v[10:11], off
	s_andn2_b64 vcc, exec, s[46:47]
	v_pk_mov_b32 v[14:15], v[4:5], v[4:5] op_sel:[0,1]
	s_mov_b64 s[80:81], s[70:71]
	s_mov_b64 s[82:83], s[68:69]
	s_mov_b32 s50, s18
	s_cbranch_vccnz .LBB1_88
.LBB1_90:                               ;   Parent Loop BB1_4 Depth=1
                                        ;     Parent Loop BB1_89 Depth=2
                                        ; =>    This Inner Loop Header: Depth=3
	global_load_dwordx2 v[16:17], v[14:15], off
	global_load_dwordx2 v[18:19], v35, s[82:83]
	global_load_dwordx2 v[38:39], v35, s[80:81]
	s_add_i32 s50, s50, -1
	s_add_u32 s82, s82, 8
	s_addc_u32 s83, s83, 0
	s_add_u32 s80, s80, 8
	v_mov_b32_e32 v9, s65
	s_addc_u32 s81, s81, 0
	s_cmp_eq_u32 s50, 0
	s_waitcnt vmcnt(1)
	v_mul_f64 v[40:41], v[18:19], v[16:17]
	s_waitcnt vmcnt(0)
	v_fmac_f64_e32 v[40:41], v[12:13], v[38:39]
	v_mul_f64 v[16:17], v[38:39], v[16:17]
	global_store_dwordx2 v[14:15], v[40:41], off
	v_add_co_u32_e32 v14, vcc, s64, v14
	v_fma_f64 v[12:13], v[12:13], v[18:19], -v[16:17]
	v_addc_co_u32_e32 v15, vcc, v15, v9, vcc
	s_cbranch_scc0 .LBB1_90
	s_branch .LBB1_88
.LBB1_91:                               ;   in Loop: Header=BB1_4 Depth=1
	s_or_b64 exec, exec, s[76:77]
	s_mov_b64 s[76:77], 0
.LBB1_92:                               ;   in Loop: Header=BB1_4 Depth=1
	s_andn2_b64 vcc, exec, s[76:77]
	s_cbranch_vccnz .LBB1_3
; %bb.93:                               ;   in Loop: Header=BB1_4 Depth=1
	s_mov_b64 s[68:69], exec
	v_readlane_b32 s44, v37, 8
	v_readlane_b32 s45, v37, 9
	s_and_b64 s[44:45], s[68:69], s[44:45]
	s_mov_b64 exec, s[44:45]
	s_cbranch_execz .LBB1_2
; %bb.94:                               ;   in Loop: Header=BB1_4 Depth=1
	s_lshl_b64 s[44:45], s[62:63], 3
	s_add_u32 s48, s54, s44
	s_addc_u32 s49, s55, s45
	s_mov_b64 s[70:71], 0
	v_mov_b32_e32 v4, v0
	s_branch .LBB1_96
.LBB1_95:                               ;   in Loop: Header=BB1_96 Depth=2
	v_add_u32_e32 v4, s4, v4
	v_cmp_le_i32_e32 vcc, s19, v4
	v_mov_b32_e32 v5, s67
	s_or_b64 s[70:71], vcc, s[70:71]
	v_add_co_u32_e32 v6, vcc, s66, v6
	v_addc_co_u32_e32 v7, vcc, v7, v5, vcc
	s_waitcnt vmcnt(0)
	global_store_dwordx2 v[8:9], v[10:11], off
	s_andn2_b64 exec, exec, s[70:71]
	s_cbranch_execz .LBB1_2
.LBB1_96:                               ;   Parent Loop BB1_4 Depth=1
                                        ; =>  This Loop Header: Depth=2
                                        ;       Child Loop BB1_97 Depth 3
	v_ashrrev_i32_e32 v5, 31, v4
	v_lshlrev_b64 v[8:9], 3, v[4:5]
	v_mov_b32_e32 v5, s49
	v_add_co_u32_e32 v8, vcc, s48, v8
	v_addc_co_u32_e32 v9, vcc, v5, v9, vcc
	global_load_dwordx2 v[10:11], v[8:9], off
	s_andn2_b64 vcc, exec, s[46:47]
	v_pk_mov_b32 v[12:13], v[6:7], v[6:7] op_sel:[0,1]
	s_mov_b64 s[76:77], s[74:75]
	s_mov_b64 s[78:79], s[72:73]
	s_mov_b32 s50, s18
	s_cbranch_vccnz .LBB1_95
.LBB1_97:                               ;   Parent Loop BB1_4 Depth=1
                                        ;     Parent Loop BB1_96 Depth=2
                                        ; =>    This Inner Loop Header: Depth=3
	global_load_dwordx2 v[14:15], v[12:13], off
	global_load_dwordx2 v[16:17], v35, s[78:79]
	global_load_dwordx2 v[18:19], v35, s[76:77]
	s_add_i32 s50, s50, -1
	s_add_u32 s78, s78, -8
	s_addc_u32 s79, s79, -1
	s_add_u32 s76, s76, -8
	v_mov_b32_e32 v5, s95
	s_addc_u32 s77, s77, -1
	s_cmp_eq_u32 s50, 0
	s_waitcnt vmcnt(1)
	v_mul_f64 v[38:39], v[16:17], v[14:15]
	s_waitcnt vmcnt(0)
	v_fmac_f64_e32 v[38:39], v[10:11], v[18:19]
	v_mul_f64 v[14:15], v[18:19], v[14:15]
	global_store_dwordx2 v[12:13], v[38:39], off
	v_add_co_u32_e32 v12, vcc, s94, v12
	v_fma_f64 v[10:11], v[10:11], v[16:17], -v[14:15]
	v_addc_co_u32_e32 v13, vcc, v13, v5, vcc
	s_cbranch_scc0 .LBB1_97
	s_branch .LBB1_95
.LBB1_98:
	s_endpgm
	.section	.rodata,"a",@progbits
	.p2align	6, 0x0
	.amdhsa_kernel _ZN9rocsolver6v33100L11lasr_kernelIddPdiEEv13rocblas_side_14rocblas_pivot_15rocblas_direct_T2_S6_PT0_lS8_lT1_lS6_lS6_
		.amdhsa_group_segment_fixed_size 0
		.amdhsa_private_segment_fixed_size 0
		.amdhsa_kernarg_size 352
		.amdhsa_user_sgpr_count 6
		.amdhsa_user_sgpr_private_segment_buffer 1
		.amdhsa_user_sgpr_dispatch_ptr 0
		.amdhsa_user_sgpr_queue_ptr 0
		.amdhsa_user_sgpr_kernarg_segment_ptr 1
		.amdhsa_user_sgpr_dispatch_id 0
		.amdhsa_user_sgpr_flat_scratch_init 0
		.amdhsa_user_sgpr_kernarg_preload_length 0
		.amdhsa_user_sgpr_kernarg_preload_offset 0
		.amdhsa_user_sgpr_private_segment_size 0
		.amdhsa_uses_dynamic_stack 0
		.amdhsa_system_sgpr_private_segment_wavefront_offset 0
		.amdhsa_system_sgpr_workgroup_id_x 1
		.amdhsa_system_sgpr_workgroup_id_y 0
		.amdhsa_system_sgpr_workgroup_id_z 1
		.amdhsa_system_sgpr_workgroup_info 0
		.amdhsa_system_vgpr_workitem_id 0
		.amdhsa_next_free_vgpr 50
		.amdhsa_next_free_sgpr 96
		.amdhsa_accum_offset 52
		.amdhsa_reserve_vcc 1
		.amdhsa_reserve_flat_scratch 0
		.amdhsa_float_round_mode_32 0
		.amdhsa_float_round_mode_16_64 0
		.amdhsa_float_denorm_mode_32 3
		.amdhsa_float_denorm_mode_16_64 3
		.amdhsa_dx10_clamp 1
		.amdhsa_ieee_mode 1
		.amdhsa_fp16_overflow 0
		.amdhsa_tg_split 0
		.amdhsa_exception_fp_ieee_invalid_op 0
		.amdhsa_exception_fp_denorm_src 0
		.amdhsa_exception_fp_ieee_div_zero 0
		.amdhsa_exception_fp_ieee_overflow 0
		.amdhsa_exception_fp_ieee_underflow 0
		.amdhsa_exception_fp_ieee_inexact 0
		.amdhsa_exception_int_div_zero 0
	.end_amdhsa_kernel
	.section	.text._ZN9rocsolver6v33100L11lasr_kernelIddPdiEEv13rocblas_side_14rocblas_pivot_15rocblas_direct_T2_S6_PT0_lS8_lT1_lS6_lS6_,"axG",@progbits,_ZN9rocsolver6v33100L11lasr_kernelIddPdiEEv13rocblas_side_14rocblas_pivot_15rocblas_direct_T2_S6_PT0_lS8_lT1_lS6_lS6_,comdat
.Lfunc_end1:
	.size	_ZN9rocsolver6v33100L11lasr_kernelIddPdiEEv13rocblas_side_14rocblas_pivot_15rocblas_direct_T2_S6_PT0_lS8_lT1_lS6_lS6_, .Lfunc_end1-_ZN9rocsolver6v33100L11lasr_kernelIddPdiEEv13rocblas_side_14rocblas_pivot_15rocblas_direct_T2_S6_PT0_lS8_lT1_lS6_lS6_
                                        ; -- End function
	.section	.AMDGPU.csdata,"",@progbits
; Kernel info:
; codeLenInByte = 4628
; NumSgprs: 100
; NumVgprs: 50
; NumAgprs: 0
; TotalNumVgprs: 50
; ScratchSize: 0
; MemoryBound: 0
; FloatMode: 240
; IeeeMode: 1
; LDSByteSize: 0 bytes/workgroup (compile time only)
; SGPRBlocks: 12
; VGPRBlocks: 6
; NumSGPRsForWavesPerEU: 100
; NumVGPRsForWavesPerEU: 50
; AccumOffset: 52
; Occupancy: 8
; WaveLimiterHint : 0
; COMPUTE_PGM_RSRC2:SCRATCH_EN: 0
; COMPUTE_PGM_RSRC2:USER_SGPR: 6
; COMPUTE_PGM_RSRC2:TRAP_HANDLER: 0
; COMPUTE_PGM_RSRC2:TGID_X_EN: 1
; COMPUTE_PGM_RSRC2:TGID_Y_EN: 0
; COMPUTE_PGM_RSRC2:TGID_Z_EN: 1
; COMPUTE_PGM_RSRC2:TIDIG_COMP_CNT: 0
; COMPUTE_PGM_RSRC3_GFX90A:ACCUM_OFFSET: 12
; COMPUTE_PGM_RSRC3_GFX90A:TG_SPLIT: 0
	.section	.text._ZN9rocsolver6v33100L11lasr_kernelI19rocblas_complex_numIfEfPS3_iEEv13rocblas_side_14rocblas_pivot_15rocblas_direct_T2_S8_PT0_lSA_lT1_lS8_lS8_,"axG",@progbits,_ZN9rocsolver6v33100L11lasr_kernelI19rocblas_complex_numIfEfPS3_iEEv13rocblas_side_14rocblas_pivot_15rocblas_direct_T2_S8_PT0_lSA_lT1_lS8_lS8_,comdat
	.globl	_ZN9rocsolver6v33100L11lasr_kernelI19rocblas_complex_numIfEfPS3_iEEv13rocblas_side_14rocblas_pivot_15rocblas_direct_T2_S8_PT0_lSA_lT1_lS8_lS8_ ; -- Begin function _ZN9rocsolver6v33100L11lasr_kernelI19rocblas_complex_numIfEfPS3_iEEv13rocblas_side_14rocblas_pivot_15rocblas_direct_T2_S8_PT0_lSA_lT1_lS8_lS8_
	.p2align	8
	.type	_ZN9rocsolver6v33100L11lasr_kernelI19rocblas_complex_numIfEfPS3_iEEv13rocblas_side_14rocblas_pivot_15rocblas_direct_T2_S8_PT0_lSA_lT1_lS8_lS8_,@function
_ZN9rocsolver6v33100L11lasr_kernelI19rocblas_complex_numIfEfPS3_iEEv13rocblas_side_14rocblas_pivot_15rocblas_direct_T2_S8_PT0_lSA_lT1_lS8_lS8_: ; @_ZN9rocsolver6v33100L11lasr_kernelI19rocblas_complex_numIfEfPS3_iEEv13rocblas_side_14rocblas_pivot_15rocblas_direct_T2_S8_PT0_lSA_lT1_lS8_lS8_
; %bb.0:
	s_load_dword s33, s[4:5], 0x58
	s_waitcnt lgkmcnt(0)
	s_cmp_ge_u32 s7, s33
	s_cbranch_scc1 .LBB2_98
; %bb.1:
	s_load_dwordx4 s[0:3], s[4:5], 0x38
	s_load_dword s20, s[4:5], 0x48
	s_load_dwordx2 s[22:23], s[4:5], 0x50
	s_load_dword s26, s[4:5], 0x60
	s_load_dwordx2 s[24:25], s[4:5], 0x68
	s_load_dwordx4 s[16:19], s[4:5], 0x0
	s_load_dword s86, s[4:5], 0x10
	s_load_dwordx8 s[8:15], s[4:5], 0x18
	s_waitcnt lgkmcnt(0)
	s_ashr_i32 s21, s20, 31
	s_and_b32 s5, s25, 0xffff
	s_mul_i32 s6, s6, s5
	s_lshl_b64 s[2:3], s[2:3], 3
	v_add_u32_e32 v0, s6, v0
	s_add_u32 s6, s0, s2
	s_addc_u32 s25, s1, s3
	s_cmpk_lg_i32 s16, 0x8d
	s_cselect_b64 s[38:39], -1, 0
	s_cmpk_lg_i32 s16, 0x8e
	s_cselect_b64 s[44:45], -1, 0
	;; [unrolled: 2-line block ×6, first 2 shown]
	s_or_b64 s[28:29], s[38:39], s[42:43]
	s_or_b64 s[16:17], s[28:29], s[52:53]
	s_xor_b64 s[16:17], s[16:17], -1
	s_ashr_i32 s27, s19, 31
	s_add_i32 s62, s19, -2
	s_cmpk_lg_i32 s18, 0xac
	s_cselect_b64 s[54:55], -1, 0
	s_or_b64 s[28:29], s[28:29], s[54:55]
	s_xor_b64 s[28:29], s[28:29], -1
	s_cmp_gt_i32 s19, 1
	s_cselect_b64 s[30:31], -1, 0
	s_or_b64 s[36:37], s[38:39], s[50:51]
	s_or_b64 s[40:41], s[38:39], s[48:49]
	;; [unrolled: 1-line block ×9, first 2 shown]
	s_xor_b64 s[34:35], s[34:35], -1
	s_xor_b64 s[36:37], s[36:37], -1
	;; [unrolled: 1-line block ×5, first 2 shown]
	s_add_i32 s18, s86, -1
	s_xor_b64 s[46:47], s[46:47], -1
                                        ; implicit-def: $vgpr48 : SGPR spill to VGPR lane
	s_add_i32 s68, s86, -2
	v_writelane_b32 v48, s46, 0
	s_cmp_gt_i32 s86, 1
	v_writelane_b32 v48, s47, 1
	s_cselect_b64 s[46:47], -1, 0
	s_or_b64 s[50:51], s[44:45], s[50:51]
	s_or_b64 s[56:57], s[50:51], s[52:53]
	s_xor_b64 s[56:57], s[56:57], -1
	v_writelane_b32 v48, s56, 2
	s_or_b64 s[50:51], s[50:51], s[54:55]
	v_writelane_b32 v48, s57, 3
	s_xor_b64 s[50:51], s[50:51], -1
	s_or_b64 s[44:45], s[44:45], s[48:49]
	v_writelane_b32 v48, s50, 4
	s_or_b64 s[48:49], s[44:45], s[52:53]
	v_writelane_b32 v48, s51, 5
	s_xor_b64 s[48:49], s[48:49], -1
	v_writelane_b32 v48, s48, 6
	v_cmp_le_i32_e32 vcc, s19, v0
	v_writelane_b32 v48, s49, 7
	s_or_b64 s[48:49], s[54:55], vcc
	s_or_b64 s[44:45], s[44:45], s[48:49]
	s_xor_b64 s[44:45], s[44:45], -1
	s_mul_i32 s4, s26, s5
	v_writelane_b32 v48, s44, 8
	v_writelane_b32 v48, s45, 9
	s_mul_hi_i32 s45, s20, s4
	s_mul_i32 s44, s20, s4
	s_mov_b32 s63, 0
	s_add_i32 s56, s19, -1
	s_lshl_b64 s[14:15], s[14:15], 2
	s_lshl_b64 s[58:59], s[22:23], 3
	s_ashr_i32 s5, s4, 31
	s_lshl_b64 s[60:61], s[44:45], 3
	s_lshl_b64 s[10:11], s[10:11], 2
	;; [unrolled: 1-line block ×3, first 2 shown]
	s_add_u32 s87, s8, s44
	s_addc_u32 s88, s9, s45
	s_add_u32 s89, s12, s44
	s_mul_i32 s26, s21, s68
	s_mul_hi_u32 s48, s20, s68
	s_addc_u32 s90, s13, s45
	s_mov_b32 s57, s63
	s_add_i32 s49, s48, s26
	s_mul_i32 s48, s20, s68
	s_mov_b32 s69, s63
	s_lshl_b64 s[44:45], s[62:63], 3
	s_lshl_b64 s[48:49], s[48:49], 3
	s_add_i32 s91, s19, 1
	s_lshl_b64 s[50:51], s[56:57], 3
	s_lshl_b64 s[62:63], s[20:21], 3
	;; [unrolled: 1-line block ×3, first 2 shown]
	s_add_u32 s5, s48, s2
	s_addc_u32 s26, s49, s3
	s_add_u32 s52, s0, s5
	s_mul_i32 s5, s21, s18
	s_mul_hi_u32 s21, s20, s18
	s_mul_i32 s66, s20, s18
	s_addc_u32 s26, s1, s26
	s_add_i32 s49, s21, s5
	s_mov_b32 s48, s66
	s_lshl_b64 s[48:49], s[48:49], 3
	s_add_u32 s5, s48, s2
	s_addc_u32 s21, s49, s3
	s_add_u32 s53, s0, s5
	s_addc_u32 s54, s1, s21
	s_lshl_b64 s[48:49], s[68:69], 2
	s_add_u32 s5, s8, s48
	s_addc_u32 s21, s9, s49
	s_add_u32 s57, s12, s48
	s_addc_u32 s92, s13, s49
	;; [unrolled: 2-line block ×4, first 2 shown]
	v_mad_i64_i32 v[2:3], s[0:1], s20, v0, 0
	v_lshlrev_b64 v[2:3], 3, v[2:3]
	v_mov_b32_e32 v1, s25
	v_add_co_u32_e32 v4, vcc, s6, v2
	v_addc_co_u32_e32 v1, vcc, v1, v3, vcc
	v_add_co_u32_e32 v2, vcc, 8, v4
	v_addc_co_u32_e32 v3, vcc, 0, v1, vcc
	v_mov_b32_e32 v5, s45
	v_add_co_u32_e32 v16, vcc, s44, v4
	v_addc_co_u32_e32 v17, vcc, v1, v5, vcc
	v_add_co_u32_e32 v18, vcc, 4, v4
	v_addc_co_u32_e32 v19, vcc, 0, v1, vcc
	v_mov_b32_e32 v1, s51
	v_add_co_u32_e32 v20, vcc, s50, v18
	v_addc_co_u32_e32 v21, vcc, v19, v1, vcc
	v_add_co_u32_e32 v22, vcc, 4, v16
	v_ashrrev_i32_e32 v1, 31, v0
	v_addc_co_u32_e32 v23, vcc, 0, v17, vcc
	v_lshlrev_b64 v[4:5], 3, v[0:1]
	v_mov_b32_e32 v1, s25
	v_add_co_u32_e32 v24, vcc, s6, v4
	v_addc_co_u32_e32 v25, vcc, v1, v5, vcc
	v_mov_b32_e32 v1, s26
	v_add_co_u32_e32 v26, vcc, s52, v4
	v_addc_co_u32_e32 v27, vcc, v1, v5, vcc
	;; [unrolled: 3-line block ×3, first 2 shown]
	v_add_co_u32_e32 v28, vcc, 4, v6
	v_addc_co_u32_e32 v29, vcc, 0, v1, vcc
	v_mov_b32_e32 v1, s3
	v_add_co_u32_e32 v4, vcc, s2, v4
	v_addc_co_u32_e32 v1, vcc, v1, v5, vcc
	v_add_co_u32_e32 v30, vcc, 4, v4
	v_addc_co_u32_e32 v31, vcc, 0, v1, vcc
	;; [unrolled: 2-line block ×3, first 2 shown]
	s_add_i32 s93, s86, 1
	v_add_co_u32_e32 v34, vcc, 4, v26
	s_sub_u32 s94, 0, s62
	v_addc_co_u32_e32 v35, vcc, 0, v27, vcc
	s_mov_b32 s26, s19
	s_mul_hi_i32 s67, s20, s18
	v_mov_b32_e32 v36, 0
	s_subb_u32 s95, 0, s63
	v_cmp_gt_i32_e64 s[0:1], s86, v0
	v_cmp_gt_i32_e64 s[2:3], s19, v0
	s_branch .LBB2_4
.LBB2_2:                                ;   in Loop: Header=BB2_4 Depth=1
	s_or_b64 exec, exec, s[68:69]
.LBB2_3:                                ;   in Loop: Header=BB2_4 Depth=1
	s_add_i32 s7, s7, s24
	s_cmp_ge_u32 s7, s33
	s_cbranch_scc1 .LBB2_98
.LBB2_4:                                ; =>This Loop Header: Depth=1
                                        ;     Child Loop BB2_8 Depth 2
                                        ;       Child Loop BB2_9 Depth 3
                                        ;     Child Loop BB2_16 Depth 2
                                        ;       Child Loop BB2_17 Depth 3
	;; [unrolled: 2-line block ×12, first 2 shown]
	s_mul_i32 s44, s11, s7
	s_mul_hi_u32 s45, s10, s7
	s_add_i32 s84, s45, s44
	s_mul_i32 s44, s15, s7
	s_mul_hi_u32 s45, s14, s7
	s_mul_i32 s85, s10, s7
	s_add_i32 s50, s45, s44
	s_add_u32 s68, s8, s85
	v_mov_b32_e32 v1, s7
	s_mul_i32 s51, s14, s7
	s_addc_u32 s69, s9, s84
	v_mad_u64_u32 v[4:5], s[44:45], s58, v1, v[2:3]
	s_add_u32 s70, s12, s51
	s_mul_i32 s44, s7, s23
	s_mul_hi_u32 s45, s7, s22
	s_addc_u32 s71, s13, s50
	s_add_i32 s45, s45, s44
	s_mul_i32 s44, s7, s22
	s_lshl_b64 s[44:45], s[44:45], 3
	s_mul_i32 s52, s59, s7
	s_add_u32 s54, s6, s44
	v_add_u32_e32 v5, s52, v5
	s_addc_u32 s55, s25, s45
	s_andn2_b64 vcc, exec, s[16:17]
	s_mov_b64 s[72:73], -1
	s_cbranch_vccnz .LBB2_11
; %bb.5:                                ;   in Loop: Header=BB2_4 Depth=1
	s_and_saveexec_b64 s[72:73], s[0:1]
	s_cbranch_execz .LBB2_10
; %bb.6:                                ;   in Loop: Header=BB2_4 Depth=1
	s_lshl_b64 s[44:45], s[26:27], 3
	s_add_u32 s44, s54, s44
	s_addc_u32 s45, s55, s45
	s_add_u32 s53, s44, -8
	s_addc_u32 s48, s45, -1
	s_mov_b64 s[74:75], 0
	v_mov_b32_e32 v1, s55
	v_pk_mov_b32 v[6:7], v[4:5], v[4:5] op_sel:[0,1]
	v_mov_b32_e32 v14, v0
	s_branch .LBB2_8
.LBB2_7:                                ;   in Loop: Header=BB2_8 Depth=2
	v_mov_b32_e32 v12, s48
	v_add_co_u32_e32 v8, vcc, s53, v8
	v_addc_co_u32_e32 v9, vcc, v12, v9, vcc
	v_add_u32_e32 v14, s4, v14
	v_cmp_le_i32_e32 vcc, s86, v14
	s_waitcnt vmcnt(0)
	global_store_dwordx2 v[8:9], v[10:11], off
	v_mov_b32_e32 v8, s61
	s_or_b64 s[74:75], vcc, s[74:75]
	v_add_co_u32_e32 v6, vcc, s60, v6
	v_addc_co_u32_e32 v7, vcc, v7, v8, vcc
	s_andn2_b64 exec, exec, s[74:75]
	s_cbranch_execz .LBB2_10
.LBB2_8:                                ;   Parent Loop BB2_4 Depth=1
                                        ; =>  This Loop Header: Depth=2
                                        ;       Child Loop BB2_9 Depth 3
	v_mad_i64_i32 v[8:9], s[44:45], v14, s20, 0
	v_lshlrev_b64 v[8:9], 3, v[8:9]
	v_add_co_u32_e32 v10, vcc, s54, v8
	v_addc_co_u32_e32 v11, vcc, v1, v9, vcc
	global_load_dwordx2 v[10:11], v[10:11], off
	s_andn2_b64 vcc, exec, s[30:31]
	s_mov_b64 s[76:77], s[68:69]
	v_pk_mov_b32 v[12:13], v[6:7], v[6:7] op_sel:[0,1]
	s_mov_b64 s[78:79], s[70:71]
	s_mov_b32 s44, s56
	s_cbranch_vccnz .LBB2_7
.LBB2_9:                                ;   Parent Loop BB2_4 Depth=1
                                        ;     Parent Loop BB2_8 Depth=2
                                        ; =>    This Inner Loop Header: Depth=3
	global_load_dword v38, v36, s[78:79]
	global_load_dwordx2 v[40:41], v[12:13], off
	global_load_dword v42, v36, s[76:77]
	s_add_i32 s44, s44, -1
	s_add_u32 s78, s78, 4
	s_addc_u32 s79, s79, 0
	s_add_u32 s76, s76, 4
	s_addc_u32 s77, s77, 0
	s_cmp_eq_u32 s44, 0
	s_waitcnt vmcnt(1)
	v_mul_f32_e32 v44, v38, v40
	v_mul_f32_e32 v45, v38, v41
	s_waitcnt vmcnt(0)
	v_fmac_f32_e32 v44, v10, v42
	v_fmac_f32_e32 v45, v11, v42
	v_pk_mul_f32 v[38:39], v[10:11], v[38:39] op_sel_hi:[1,0]
	global_store_dwordx2 v[12:13], v[44:45], off offset:-8
	v_add_co_u32_e32 v12, vcc, 8, v12
	v_pk_fma_f32 v[10:11], v[42:43], v[40:41], v[38:39] op_sel_hi:[0,1,1] neg_lo:[0,0,1] neg_hi:[0,0,1]
	v_addc_co_u32_e32 v13, vcc, 0, v13, vcc
	s_cbranch_scc0 .LBB2_9
	s_branch .LBB2_7
.LBB2_10:                               ;   in Loop: Header=BB2_4 Depth=1
	s_or_b64 exec, exec, s[72:73]
	s_mov_b64 s[72:73], 0
.LBB2_11:                               ;   in Loop: Header=BB2_4 Depth=1
	s_andn2_b64 vcc, exec, s[72:73]
	s_cbranch_vccnz .LBB2_3
; %bb.12:                               ;   in Loop: Header=BB2_4 Depth=1
	s_mul_hi_u32 s44, s58, s7
	s_add_i32 s52, s44, s52
	s_add_u32 s72, s87, s85
	s_addc_u32 s73, s88, s84
	s_add_u32 s74, s89, s51
	s_mul_i32 s53, s58, s7
	s_addc_u32 s75, s90, s50
	s_andn2_b64 vcc, exec, s[28:29]
	s_mov_b64 s[76:77], -1
	s_cbranch_vccnz .LBB2_19
; %bb.13:                               ;   in Loop: Header=BB2_4 Depth=1
	s_and_saveexec_b64 s[76:77], s[0:1]
	s_cbranch_execz .LBB2_18
; %bb.14:                               ;   in Loop: Header=BB2_4 Depth=1
	s_lshl_b64 s[44:45], s[26:27], 3
	s_add_u32 s44, s54, s44
	s_addc_u32 s45, s55, s45
	v_mov_b32_e32 v1, s52
	v_add_co_u32_e32 v6, vcc, s53, v16
	s_add_u32 s48, s44, -8
	v_addc_co_u32_e32 v7, vcc, v17, v1, vcc
	s_addc_u32 s49, s45, -1
	s_mov_b64 s[78:79], 0
	v_mov_b32_e32 v1, v0
	s_branch .LBB2_16
.LBB2_15:                               ;   in Loop: Header=BB2_16 Depth=2
	v_mov_b32_e32 v12, s55
	v_add_co_u32_e32 v8, vcc, s54, v8
	v_addc_co_u32_e32 v9, vcc, v12, v9, vcc
	v_add_u32_e32 v1, s4, v1
	v_cmp_le_i32_e32 vcc, s86, v1
	s_waitcnt vmcnt(0)
	global_store_dwordx2 v[8:9], v[10:11], off
	v_mov_b32_e32 v8, s61
	s_or_b64 s[78:79], vcc, s[78:79]
	v_add_co_u32_e32 v6, vcc, s60, v6
	v_addc_co_u32_e32 v7, vcc, v7, v8, vcc
	s_andn2_b64 exec, exec, s[78:79]
	s_cbranch_execz .LBB2_18
.LBB2_16:                               ;   Parent Loop BB2_4 Depth=1
                                        ; =>  This Loop Header: Depth=2
                                        ;       Child Loop BB2_17 Depth 3
	v_mad_i64_i32 v[8:9], s[44:45], v1, s20, 0
	v_lshlrev_b64 v[8:9], 3, v[8:9]
	v_mov_b32_e32 v11, s49
	v_add_co_u32_e32 v10, vcc, s48, v8
	v_addc_co_u32_e32 v11, vcc, v11, v9, vcc
	global_load_dwordx2 v[10:11], v[10:11], off
	s_andn2_b64 vcc, exec, s[30:31]
	v_pk_mov_b32 v[12:13], v[6:7], v[6:7] op_sel:[0,1]
	s_mov_b64 s[80:81], s[74:75]
	s_mov_b64 s[82:83], s[72:73]
	s_mov_b32 s44, s56
	s_cbranch_vccnz .LBB2_15
.LBB2_17:                               ;   Parent Loop BB2_4 Depth=1
                                        ;     Parent Loop BB2_16 Depth=2
                                        ; =>    This Inner Loop Header: Depth=3
	global_load_dwordx2 v[14:15], v[12:13], off
	global_load_dword v38, v36, s[80:81]
	global_load_dword v40, v36, s[82:83]
	s_add_i32 s44, s44, -1
	s_add_u32 s82, s82, -4
	s_addc_u32 s83, s83, -1
	s_add_u32 s80, s80, -4
	s_addc_u32 s81, s81, -1
	s_cmp_eq_u32 s44, 0
	s_waitcnt vmcnt(1)
	v_mul_f32_e32 v37, v38, v14
	v_mul_f32_e32 v39, v38, v15
	s_waitcnt vmcnt(0)
	v_fma_f32 v42, v10, v40, -v37
	v_fma_f32 v43, v11, v40, -v39
	v_pk_mul_f32 v[14:15], v[40:41], v[14:15] op_sel_hi:[0,1]
	global_store_dwordx2 v[12:13], v[42:43], off offset:8
	v_add_co_u32_e32 v12, vcc, -8, v12
	v_pk_fma_f32 v[10:11], v[10:11], v[38:39], v[14:15] op_sel_hi:[1,0,1]
	v_addc_co_u32_e32 v13, vcc, -1, v13, vcc
	s_cbranch_scc0 .LBB2_17
	s_branch .LBB2_15
.LBB2_18:                               ;   in Loop: Header=BB2_4 Depth=1
	s_or_b64 exec, exec, s[76:77]
	s_mov_b64 s[76:77], 0
.LBB2_19:                               ;   in Loop: Header=BB2_4 Depth=1
	s_andn2_b64 vcc, exec, s[76:77]
	s_cbranch_vccnz .LBB2_3
; %bb.20:                               ;   in Loop: Header=BB2_4 Depth=1
	s_andn2_b64 vcc, exec, s[34:35]
	s_mov_b64 s[76:77], -1
	s_cbranch_vccnz .LBB2_27
; %bb.21:                               ;   in Loop: Header=BB2_4 Depth=1
	s_and_saveexec_b64 s[76:77], s[0:1]
	s_cbranch_execz .LBB2_26
; %bb.22:                               ;   in Loop: Header=BB2_4 Depth=1
	s_mov_b64 s[78:79], 0
	v_mov_b32_e32 v1, v0
	s_branch .LBB2_24
.LBB2_23:                               ;   in Loop: Header=BB2_24 Depth=2
	v_add_u32_e32 v1, s4, v1
	v_cmp_le_i32_e32 vcc, s86, v1
	s_waitcnt vmcnt(0)
	global_store_dwordx2 v[6:7], v[8:9], off
	v_mov_b32_e32 v6, s61
	s_or_b64 s[78:79], vcc, s[78:79]
	v_add_co_u32_e32 v4, vcc, s60, v4
	v_addc_co_u32_e32 v5, vcc, v5, v6, vcc
	s_andn2_b64 exec, exec, s[78:79]
	s_cbranch_execz .LBB2_26
.LBB2_24:                               ;   Parent Loop BB2_4 Depth=1
                                        ; =>  This Loop Header: Depth=2
                                        ;       Child Loop BB2_25 Depth 3
	v_mad_i64_i32 v[6:7], s[44:45], v1, s20, 0
	v_lshlrev_b64 v[6:7], 3, v[6:7]
	v_mov_b32_e32 v8, s55
	v_add_co_u32_e32 v6, vcc, s54, v6
	v_addc_co_u32_e32 v7, vcc, v8, v7, vcc
	global_load_dwordx2 v[8:9], v[6:7], off
	s_andn2_b64 vcc, exec, s[30:31]
	v_pk_mov_b32 v[10:11], v[4:5], v[4:5] op_sel:[0,1]
	s_mov_b32 s44, s56
	s_mov_b64 s[80:81], s[68:69]
	s_mov_b64 s[82:83], s[70:71]
	s_cbranch_vccnz .LBB2_23
.LBB2_25:                               ;   Parent Loop BB2_4 Depth=1
                                        ;     Parent Loop BB2_24 Depth=2
                                        ; =>    This Inner Loop Header: Depth=3
	global_load_dword v12, v36, s[82:83]
	global_load_dwordx2 v[14:15], v[10:11], off
	global_load_dword v38, v36, s[80:81]
	s_add_u32 s82, s82, 4
	s_addc_u32 s83, s83, 0
	s_add_u32 s80, s80, 4
	s_addc_u32 s81, s81, 0
	s_add_i32 s44, s44, -1
	s_cmp_eq_u32 s44, 0
	s_waitcnt vmcnt(2)
	v_mul_f32_e32 v37, v8, v12
	v_mul_f32_e32 v39, v9, v12
	s_waitcnt vmcnt(1)
	v_pk_mul_f32 v[12:13], v[12:13], v[14:15] op_sel_hi:[0,1]
	s_waitcnt vmcnt(0)
	v_fma_f32 v14, v38, v14, -v37
	v_fma_f32 v15, v38, v15, -v39
	global_store_dwordx2 v[10:11], v[14:15], off
	v_add_co_u32_e32 v10, vcc, 8, v10
	v_pk_fma_f32 v[8:9], v[8:9], v[38:39], v[12:13] op_sel_hi:[1,0,1]
	v_addc_co_u32_e32 v11, vcc, 0, v11, vcc
	s_cbranch_scc0 .LBB2_25
	s_branch .LBB2_23
.LBB2_26:                               ;   in Loop: Header=BB2_4 Depth=1
	s_or_b64 exec, exec, s[76:77]
	s_mov_b64 s[76:77], 0
.LBB2_27:                               ;   in Loop: Header=BB2_4 Depth=1
	s_andn2_b64 vcc, exec, s[76:77]
	s_cbranch_vccnz .LBB2_3
; %bb.28:                               ;   in Loop: Header=BB2_4 Depth=1
	s_andn2_b64 vcc, exec, s[36:37]
	s_mov_b64 s[76:77], -1
	s_cbranch_vccnz .LBB2_35
; %bb.29:                               ;   in Loop: Header=BB2_4 Depth=1
	s_and_saveexec_b64 s[76:77], s[0:1]
	s_cbranch_execz .LBB2_34
; %bb.30:                               ;   in Loop: Header=BB2_4 Depth=1
	v_mov_b32_e32 v1, s52
	v_add_co_u32_e32 v4, vcc, s53, v20
	v_addc_co_u32_e32 v5, vcc, v21, v1, vcc
	s_mov_b64 s[78:79], 0
	v_mov_b32_e32 v1, v0
	s_branch .LBB2_32
.LBB2_31:                               ;   in Loop: Header=BB2_32 Depth=2
	v_add_u32_e32 v1, s4, v1
	v_cmp_le_i32_e32 vcc, s86, v1
	s_waitcnt vmcnt(0)
	global_store_dwordx2 v[6:7], v[8:9], off
	v_mov_b32_e32 v6, s61
	s_or_b64 s[78:79], vcc, s[78:79]
	v_add_co_u32_e32 v4, vcc, s60, v4
	v_addc_co_u32_e32 v5, vcc, v5, v6, vcc
	s_andn2_b64 exec, exec, s[78:79]
	s_cbranch_execz .LBB2_34
.LBB2_32:                               ;   Parent Loop BB2_4 Depth=1
                                        ; =>  This Loop Header: Depth=2
                                        ;       Child Loop BB2_33 Depth 3
	v_mad_i64_i32 v[6:7], s[44:45], v1, s20, 0
	v_lshlrev_b64 v[6:7], 3, v[6:7]
	v_mov_b32_e32 v8, s55
	v_add_co_u32_e32 v6, vcc, s54, v6
	v_addc_co_u32_e32 v7, vcc, v8, v7, vcc
	global_load_dwordx2 v[8:9], v[6:7], off
	s_andn2_b64 vcc, exec, s[30:31]
	v_pk_mov_b32 v[10:11], v[4:5], v[4:5] op_sel:[0,1]
	s_mov_b64 s[80:81], s[74:75]
	s_mov_b64 s[82:83], s[72:73]
	s_mov_b32 s44, s91
	s_cbranch_vccnz .LBB2_31
.LBB2_33:                               ;   Parent Loop BB2_4 Depth=1
                                        ;     Parent Loop BB2_32 Depth=2
                                        ; =>    This Inner Loop Header: Depth=3
	global_load_dword v12, v36, s[80:81]
	global_load_dwordx2 v[14:15], v[10:11], off offset:-4
	global_load_dword v38, v36, s[82:83]
	s_add_i32 s44, s44, -1
	s_add_u32 s82, s82, -4
	s_addc_u32 s83, s83, -1
	s_add_u32 s80, s80, -4
	s_addc_u32 s81, s81, -1
	s_cmp_lt_u32 s44, 3
	s_waitcnt vmcnt(2)
	v_mul_f32_e32 v37, v8, v12
	v_mul_f32_e32 v39, v9, v12
	s_waitcnt vmcnt(1)
	v_pk_mul_f32 v[12:13], v[12:13], v[14:15] op_sel_hi:[0,1]
	s_waitcnt vmcnt(0)
	v_fma_f32 v14, v38, v14, -v37
	v_fma_f32 v15, v38, v15, -v39
	global_store_dwordx2 v[10:11], v[14:15], off offset:-4
	v_add_co_u32_e32 v10, vcc, -8, v10
	v_pk_fma_f32 v[8:9], v[8:9], v[38:39], v[12:13] op_sel_hi:[1,0,1]
	v_addc_co_u32_e32 v11, vcc, -1, v11, vcc
	s_cbranch_scc0 .LBB2_33
	s_branch .LBB2_31
.LBB2_34:                               ;   in Loop: Header=BB2_4 Depth=1
	s_or_b64 exec, exec, s[76:77]
	s_mov_b64 s[76:77], 0
.LBB2_35:                               ;   in Loop: Header=BB2_4 Depth=1
	s_andn2_b64 vcc, exec, s[76:77]
	s_cbranch_vccnz .LBB2_3
; %bb.36:                               ;   in Loop: Header=BB2_4 Depth=1
	s_andn2_b64 vcc, exec, s[38:39]
	s_mov_b64 s[76:77], -1
	s_cbranch_vccnz .LBB2_43
; %bb.37:                               ;   in Loop: Header=BB2_4 Depth=1
	s_and_saveexec_b64 s[76:77], s[0:1]
	s_cbranch_execz .LBB2_42
; %bb.38:                               ;   in Loop: Header=BB2_4 Depth=1
	s_lshl_b64 s[44:45], s[26:27], 3
	s_add_u32 s44, s54, s44
	s_addc_u32 s45, s55, s45
	v_mov_b32_e32 v1, s52
	v_add_co_u32_e32 v4, vcc, s53, v18
	s_add_u32 s48, s44, -8
	v_addc_co_u32_e32 v5, vcc, v19, v1, vcc
	s_addc_u32 s49, s45, -1
	s_mov_b64 s[78:79], 0
	v_mov_b32_e32 v1, v0
	s_branch .LBB2_40
.LBB2_39:                               ;   in Loop: Header=BB2_40 Depth=2
	v_add_u32_e32 v1, s4, v1
	v_cmp_le_i32_e32 vcc, s86, v1
	s_waitcnt vmcnt(0)
	global_store_dwordx2 v[6:7], v[8:9], off
	v_mov_b32_e32 v6, s61
	s_or_b64 s[78:79], vcc, s[78:79]
	v_add_co_u32_e32 v4, vcc, s60, v4
	v_addc_co_u32_e32 v5, vcc, v5, v6, vcc
	s_andn2_b64 exec, exec, s[78:79]
	s_cbranch_execz .LBB2_42
.LBB2_40:                               ;   Parent Loop BB2_4 Depth=1
                                        ; =>  This Loop Header: Depth=2
                                        ;       Child Loop BB2_41 Depth 3
	v_mad_i64_i32 v[6:7], s[44:45], v1, s20, 0
	v_lshlrev_b64 v[6:7], 3, v[6:7]
	v_mov_b32_e32 v8, s49
	v_add_co_u32_e32 v6, vcc, s48, v6
	v_addc_co_u32_e32 v7, vcc, v8, v7, vcc
	global_load_dwordx2 v[8:9], v[6:7], off
	s_andn2_b64 vcc, exec, s[30:31]
	v_pk_mov_b32 v[10:11], v[4:5], v[4:5] op_sel:[0,1]
	s_mov_b64 s[80:81], s[70:71]
	s_mov_b64 s[82:83], s[68:69]
	s_mov_b32 s44, s56
	s_cbranch_vccnz .LBB2_39
.LBB2_41:                               ;   Parent Loop BB2_4 Depth=1
                                        ;     Parent Loop BB2_40 Depth=2
                                        ; =>    This Inner Loop Header: Depth=3
	global_load_dwordx2 v[12:13], v[10:11], off offset:-4
	global_load_dword v14, v36, s[82:83]
	global_load_dword v38, v36, s[80:81]
	s_add_i32 s44, s44, -1
	s_add_u32 s82, s82, 4
	s_addc_u32 s83, s83, 0
	s_add_u32 s80, s80, 4
	s_addc_u32 s81, s81, 0
	s_cmp_eq_u32 s44, 0
	s_waitcnt vmcnt(1)
	v_mul_f32_e32 v40, v14, v12
	v_mul_f32_e32 v41, v14, v13
	s_waitcnt vmcnt(0)
	v_fmac_f32_e32 v40, v8, v38
	v_fmac_f32_e32 v41, v9, v38
	v_pk_mul_f32 v[12:13], v[38:39], v[12:13] op_sel_hi:[0,1]
	global_store_dwordx2 v[10:11], v[40:41], off offset:-4
	v_add_co_u32_e32 v10, vcc, 8, v10
	v_pk_fma_f32 v[8:9], v[8:9], v[14:15], v[12:13] op_sel_hi:[1,0,1] neg_lo:[0,0,1] neg_hi:[0,0,1]
	v_addc_co_u32_e32 v11, vcc, 0, v11, vcc
	s_cbranch_scc0 .LBB2_41
	s_branch .LBB2_39
.LBB2_42:                               ;   in Loop: Header=BB2_4 Depth=1
	s_or_b64 exec, exec, s[76:77]
	s_mov_b64 s[76:77], 0
.LBB2_43:                               ;   in Loop: Header=BB2_4 Depth=1
	s_andn2_b64 vcc, exec, s[76:77]
	s_cbranch_vccnz .LBB2_3
; %bb.44:                               ;   in Loop: Header=BB2_4 Depth=1
	s_andn2_b64 vcc, exec, s[40:41]
	s_mov_b64 s[76:77], -1
	s_cbranch_vccnz .LBB2_51
; %bb.45:                               ;   in Loop: Header=BB2_4 Depth=1
	s_and_saveexec_b64 s[76:77], s[0:1]
	s_cbranch_execz .LBB2_50
; %bb.46:                               ;   in Loop: Header=BB2_4 Depth=1
	s_lshl_b64 s[44:45], s[26:27], 3
	s_add_u32 s44, s54, s44
	s_addc_u32 s45, s55, s45
	v_mov_b32_e32 v1, s52
	v_add_co_u32_e32 v4, vcc, s53, v22
	s_add_u32 s48, s44, -8
	v_addc_co_u32_e32 v5, vcc, v23, v1, vcc
	s_addc_u32 s49, s45, -1
	s_mov_b64 s[78:79], 0
	v_mov_b32_e32 v1, v0
	s_branch .LBB2_48
.LBB2_47:                               ;   in Loop: Header=BB2_48 Depth=2
	v_add_u32_e32 v1, s4, v1
	v_cmp_le_i32_e32 vcc, s86, v1
	s_waitcnt vmcnt(0)
	global_store_dwordx2 v[6:7], v[8:9], off
	v_mov_b32_e32 v6, s61
	s_or_b64 s[78:79], vcc, s[78:79]
	v_add_co_u32_e32 v4, vcc, s60, v4
	v_addc_co_u32_e32 v5, vcc, v5, v6, vcc
	s_andn2_b64 exec, exec, s[78:79]
	s_cbranch_execz .LBB2_50
.LBB2_48:                               ;   Parent Loop BB2_4 Depth=1
                                        ; =>  This Loop Header: Depth=2
                                        ;       Child Loop BB2_49 Depth 3
	v_mad_i64_i32 v[6:7], s[44:45], v1, s20, 0
	v_lshlrev_b64 v[6:7], 3, v[6:7]
	v_mov_b32_e32 v8, s49
	v_add_co_u32_e32 v6, vcc, s48, v6
	v_addc_co_u32_e32 v7, vcc, v8, v7, vcc
	global_load_dwordx2 v[8:9], v[6:7], off
	s_andn2_b64 vcc, exec, s[30:31]
	v_pk_mov_b32 v[10:11], v[4:5], v[4:5] op_sel:[0,1]
	s_mov_b64 s[80:81], s[74:75]
	s_mov_b64 s[82:83], s[72:73]
	s_mov_b32 s44, s56
	s_cbranch_vccnz .LBB2_47
.LBB2_49:                               ;   Parent Loop BB2_4 Depth=1
                                        ;     Parent Loop BB2_48 Depth=2
                                        ; =>    This Inner Loop Header: Depth=3
	global_load_dwordx2 v[12:13], v[10:11], off offset:-4
	global_load_dword v14, v36, s[82:83]
	global_load_dword v38, v36, s[80:81]
	s_add_i32 s44, s44, -1
	s_add_u32 s82, s82, -4
	s_addc_u32 s83, s83, -1
	s_add_u32 s80, s80, -4
	s_addc_u32 s81, s81, -1
	s_cmp_eq_u32 s44, 0
	s_waitcnt vmcnt(1)
	v_mul_f32_e32 v40, v14, v12
	v_mul_f32_e32 v41, v14, v13
	s_waitcnt vmcnt(0)
	v_fmac_f32_e32 v40, v8, v38
	v_fmac_f32_e32 v41, v9, v38
	v_pk_mul_f32 v[12:13], v[38:39], v[12:13] op_sel_hi:[0,1]
	global_store_dwordx2 v[10:11], v[40:41], off offset:-4
	v_add_co_u32_e32 v10, vcc, -8, v10
	v_pk_fma_f32 v[8:9], v[8:9], v[14:15], v[12:13] op_sel_hi:[1,0,1] neg_lo:[0,0,1] neg_hi:[0,0,1]
	v_addc_co_u32_e32 v11, vcc, -1, v11, vcc
	s_cbranch_scc0 .LBB2_49
	s_branch .LBB2_47
.LBB2_50:                               ;   in Loop: Header=BB2_4 Depth=1
	s_or_b64 exec, exec, s[76:77]
	s_mov_b64 s[76:77], 0
.LBB2_51:                               ;   in Loop: Header=BB2_4 Depth=1
	s_andn2_b64 vcc, exec, s[76:77]
	s_cbranch_vccnz .LBB2_3
; %bb.52:                               ;   in Loop: Header=BB2_4 Depth=1
	s_andn2_b64 vcc, exec, s[42:43]
	s_mov_b64 s[72:73], -1
	s_cbranch_vccnz .LBB2_59
; %bb.53:                               ;   in Loop: Header=BB2_4 Depth=1
	s_and_saveexec_b64 s[72:73], s[2:3]
	s_cbranch_execz .LBB2_58
; %bb.54:                               ;   in Loop: Header=BB2_4 Depth=1
	s_lshl_b64 s[44:45], s[66:67], 3
	v_mov_b32_e32 v1, s52
	v_add_co_u32_e32 v4, vcc, s53, v24
	s_add_u32 s80, s54, s44
	v_addc_co_u32_e32 v5, vcc, v25, v1, vcc
	s_addc_u32 s81, s55, s45
	s_mov_b64 s[74:75], 0
	v_mov_b32_e32 v6, v0
	s_branch .LBB2_56
.LBB2_55:                               ;   in Loop: Header=BB2_56 Depth=2
	v_mov_b32_e32 v1, s81
	v_add_co_u32_e32 v8, vcc, s80, v8
	v_addc_co_u32_e32 v9, vcc, v1, v9, vcc
	v_add_u32_e32 v6, s4, v6
	v_cmp_le_i32_e32 vcc, s19, v6
	v_mov_b32_e32 v1, s65
	s_or_b64 s[74:75], vcc, s[74:75]
	v_add_co_u32_e32 v4, vcc, s64, v4
	v_addc_co_u32_e32 v5, vcc, v5, v1, vcc
	s_waitcnt vmcnt(0)
	global_store_dwordx2 v[8:9], v[10:11], off
	s_andn2_b64 exec, exec, s[74:75]
	s_cbranch_execz .LBB2_58
.LBB2_56:                               ;   Parent Loop BB2_4 Depth=1
                                        ; =>  This Loop Header: Depth=2
                                        ;       Child Loop BB2_57 Depth 3
	v_ashrrev_i32_e32 v7, 31, v6
	v_lshlrev_b64 v[8:9], 3, v[6:7]
	v_mov_b32_e32 v1, s55
	v_add_co_u32_e32 v10, vcc, s54, v8
	v_addc_co_u32_e32 v11, vcc, v1, v9, vcc
	global_load_dwordx2 v[10:11], v[10:11], off
	s_andn2_b64 vcc, exec, s[46:47]
	s_mov_b64 s[76:77], s[70:71]
	s_mov_b64 s[78:79], s[68:69]
	v_pk_mov_b32 v[12:13], v[4:5], v[4:5] op_sel:[0,1]
	s_mov_b32 s44, s18
	s_cbranch_vccnz .LBB2_55
.LBB2_57:                               ;   Parent Loop BB2_4 Depth=1
                                        ;     Parent Loop BB2_56 Depth=2
                                        ; =>    This Inner Loop Header: Depth=3
	v_mov_b32_e32 v1, s63
	v_add_co_u32_e32 v38, vcc, s62, v12
	global_load_dword v14, v36, s[76:77]
	v_addc_co_u32_e32 v39, vcc, v13, v1, vcc
	global_load_dwordx2 v[40:41], v[38:39], off
	global_load_dword v42, v36, s[78:79]
	s_add_i32 s44, s44, -1
	s_add_u32 s78, s78, 4
	s_addc_u32 s79, s79, 0
	s_add_u32 s76, s76, 4
	s_addc_u32 s77, s77, 0
	s_cmp_eq_u32 s44, 0
	s_waitcnt vmcnt(2)
	v_pk_mul_f32 v[44:45], v[10:11], v[14:15] op_sel_hi:[1,0]
	s_waitcnt vmcnt(1)
	v_mul_f32_e32 v46, v14, v40
	v_mul_f32_e32 v47, v14, v41
	s_waitcnt vmcnt(0)
	v_fmac_f32_e32 v46, v10, v42
	v_fmac_f32_e32 v47, v11, v42
	v_pk_fma_f32 v[10:11], v[42:43], v[40:41], v[44:45] op_sel_hi:[0,1,1] neg_lo:[0,0,1] neg_hi:[0,0,1]
	global_store_dwordx2 v[12:13], v[46:47], off
	v_pk_mov_b32 v[12:13], v[38:39], v[38:39] op_sel:[0,1]
	s_cbranch_scc0 .LBB2_57
	s_branch .LBB2_55
.LBB2_58:                               ;   in Loop: Header=BB2_4 Depth=1
	s_or_b64 exec, exec, s[72:73]
	s_mov_b64 s[72:73], 0
.LBB2_59:                               ;   in Loop: Header=BB2_4 Depth=1
	s_andn2_b64 vcc, exec, s[72:73]
	s_cbranch_vccnz .LBB2_3
; %bb.60:                               ;   in Loop: Header=BB2_4 Depth=1
	s_add_u32 s72, s5, s85
	s_addc_u32 s73, s21, s84
	v_mov_b32_e32 v1, s52
	v_add_co_u32_e32 v4, vcc, s53, v28
	v_readlane_b32 s44, v48, 0
	s_add_u32 s74, s57, s51
	v_addc_co_u32_e32 v5, vcc, v29, v1, vcc
	v_readlane_b32 s45, v48, 1
	s_addc_u32 s75, s92, s50
	s_andn2_b64 vcc, exec, s[44:45]
	s_mov_b64 s[76:77], -1
	s_cbranch_vccnz .LBB2_68
; %bb.61:                               ;   in Loop: Header=BB2_4 Depth=1
	s_and_saveexec_b64 s[76:77], s[2:3]
	s_cbranch_execz .LBB2_67
; %bb.62:                               ;   in Loop: Header=BB2_4 Depth=1
	s_lshl_b64 s[44:45], s[66:67], 3
	v_mov_b32_e32 v1, s52
	v_add_co_u32_e32 v6, vcc, s53, v26
	s_add_u32 s50, s54, s44
	v_addc_co_u32_e32 v1, vcc, v27, v1, vcc
	s_addc_u32 s51, s55, s45
	s_mov_b64 s[78:79], 0
	v_pk_mov_b32 v[8:9], v[4:5], v[4:5] op_sel:[0,1]
	v_mov_b32_e32 v10, v0
	s_branch .LBB2_64
.LBB2_63:                               ;   in Loop: Header=BB2_64 Depth=2
	v_mov_b32_e32 v7, s55
	v_add_co_u32_e32 v12, vcc, s54, v12
	v_addc_co_u32_e32 v13, vcc, v7, v13, vcc
	v_mov_b32_e32 v7, s65
	v_add_co_u32_e32 v6, vcc, s64, v6
	v_add_u32_e32 v10, s4, v10
	v_addc_co_u32_e32 v1, vcc, v1, v7, vcc
	v_cmp_le_i32_e32 vcc, s19, v10
	s_or_b64 s[78:79], vcc, s[78:79]
	v_add_co_u32_e32 v8, vcc, s64, v8
	v_addc_co_u32_e32 v9, vcc, v9, v7, vcc
	s_waitcnt vmcnt(0)
	global_store_dwordx2 v[12:13], v[14:15], off
	s_andn2_b64 exec, exec, s[78:79]
	s_cbranch_execz .LBB2_67
.LBB2_64:                               ;   Parent Loop BB2_4 Depth=1
                                        ; =>  This Loop Header: Depth=2
                                        ;       Child Loop BB2_66 Depth 3
	v_ashrrev_i32_e32 v11, 31, v10
	v_lshlrev_b64 v[12:13], 3, v[10:11]
	v_mov_b32_e32 v7, s51
	v_add_co_u32_e32 v14, vcc, s50, v12
	v_addc_co_u32_e32 v15, vcc, v7, v13, vcc
	global_load_dwordx2 v[14:15], v[14:15], off
	s_andn2_b64 vcc, exec, s[46:47]
	s_cbranch_vccnz .LBB2_63
; %bb.65:                               ;   in Loop: Header=BB2_64 Depth=2
	s_mov_b64 s[80:81], 0
	s_mov_b64 s[82:83], s[74:75]
	;; [unrolled: 1-line block ×3, first 2 shown]
	s_mov_b32 s48, s18
.LBB2_66:                               ;   Parent Loop BB2_4 Depth=1
                                        ;     Parent Loop BB2_64 Depth=2
                                        ; =>    This Inner Loop Header: Depth=3
	v_mov_b32_e32 v7, s81
	v_add_co_u32_e32 v42, vcc, s80, v6
	v_addc_co_u32_e32 v43, vcc, v1, v7, vcc
	global_load_dword v38, v36, s[84:85]
	global_load_dword v40, v36, s[82:83]
	s_add_i32 s48, s48, -1
	global_load_dwordx2 v[42:43], v[42:43], off
	v_add_co_u32_e32 v44, vcc, s80, v8
	s_sub_u32 s80, s80, s62
	s_subb_u32 s81, s81, s63
	s_add_u32 s84, s84, -4
	s_addc_u32 s85, s85, -1
	s_add_u32 s82, s82, -4
	v_addc_co_u32_e32 v45, vcc, v9, v7, vcc
	s_addc_u32 s83, s83, -1
	s_cmp_eq_u32 s48, 0
	s_waitcnt vmcnt(0)
	v_mul_f32_e32 v7, v40, v42
	v_mul_f32_e32 v11, v40, v43
	v_pk_mul_f32 v[42:43], v[38:39], v[42:43] op_sel_hi:[0,1]
	v_fma_f32 v46, v14, v38, -v7
	v_fma_f32 v47, v15, v38, -v11
	v_pk_fma_f32 v[14:15], v[14:15], v[40:41], v[42:43] op_sel_hi:[1,0,1]
	global_store_dwordx2 v[44:45], v[46:47], off offset:-4
	s_cbranch_scc0 .LBB2_66
	s_branch .LBB2_63
.LBB2_67:                               ;   in Loop: Header=BB2_4 Depth=1
	s_or_b64 exec, exec, s[76:77]
	s_mov_b64 s[76:77], 0
.LBB2_68:                               ;   in Loop: Header=BB2_4 Depth=1
	s_andn2_b64 vcc, exec, s[76:77]
	s_cbranch_vccnz .LBB2_3
; %bb.69:                               ;   in Loop: Header=BB2_4 Depth=1
	v_readlane_b32 s44, v48, 2
	v_readlane_b32 s45, v48, 3
	s_andn2_b64 vcc, exec, s[44:45]
	s_mov_b64 s[76:77], -1
	s_cbranch_vccnz .LBB2_76
; %bb.70:                               ;   in Loop: Header=BB2_4 Depth=1
	s_and_saveexec_b64 s[76:77], s[2:3]
	s_cbranch_execz .LBB2_75
; %bb.71:                               ;   in Loop: Header=BB2_4 Depth=1
	v_mov_b32_e32 v1, s52
	v_add_co_u32_e32 v6, vcc, s53, v30
	v_addc_co_u32_e32 v7, vcc, v31, v1, vcc
	s_mov_b64 s[78:79], 0
	v_mov_b32_e32 v8, v0
	s_branch .LBB2_73
.LBB2_72:                               ;   in Loop: Header=BB2_73 Depth=2
	v_add_u32_e32 v8, s4, v8
	v_cmp_le_i32_e32 vcc, s19, v8
	v_mov_b32_e32 v1, s65
	s_or_b64 s[78:79], vcc, s[78:79]
	v_add_co_u32_e32 v6, vcc, s64, v6
	v_addc_co_u32_e32 v7, vcc, v7, v1, vcc
	s_waitcnt vmcnt(0)
	global_store_dwordx2 v[10:11], v[12:13], off
	s_andn2_b64 exec, exec, s[78:79]
	s_cbranch_execz .LBB2_75
.LBB2_73:                               ;   Parent Loop BB2_4 Depth=1
                                        ; =>  This Loop Header: Depth=2
                                        ;       Child Loop BB2_74 Depth 3
	v_ashrrev_i32_e32 v9, 31, v8
	v_lshlrev_b64 v[10:11], 3, v[8:9]
	v_mov_b32_e32 v1, s55
	v_add_co_u32_e32 v10, vcc, s54, v10
	v_addc_co_u32_e32 v11, vcc, v1, v11, vcc
	global_load_dwordx2 v[12:13], v[10:11], off
	s_andn2_b64 vcc, exec, s[46:47]
	v_pk_mov_b32 v[14:15], v[6:7], v[6:7] op_sel:[0,1]
	s_mov_b32 s48, s18
	s_mov_b64 s[80:81], s[68:69]
	s_mov_b64 s[82:83], s[70:71]
	s_cbranch_vccnz .LBB2_72
.LBB2_74:                               ;   Parent Loop BB2_4 Depth=1
                                        ;     Parent Loop BB2_73 Depth=2
                                        ; =>    This Inner Loop Header: Depth=3
	global_load_dword v38, v36, s[82:83]
	global_load_dwordx2 v[40:41], v[14:15], off offset:-4
	global_load_dword v42, v36, s[80:81]
	s_add_u32 s82, s82, 4
	s_addc_u32 s83, s83, 0
	s_add_u32 s80, s80, 4
	v_mov_b32_e32 v1, s63
	s_addc_u32 s81, s81, 0
	s_add_i32 s48, s48, -1
	s_cmp_eq_u32 s48, 0
	s_waitcnt vmcnt(2)
	v_mul_f32_e32 v9, v12, v38
	v_mul_f32_e32 v37, v13, v38
	s_waitcnt vmcnt(1)
	v_pk_mul_f32 v[38:39], v[38:39], v[40:41] op_sel_hi:[0,1]
	s_waitcnt vmcnt(0)
	v_fma_f32 v40, v42, v40, -v9
	v_fma_f32 v41, v42, v41, -v37
	global_store_dwordx2 v[14:15], v[40:41], off offset:-4
	v_add_co_u32_e32 v14, vcc, s62, v14
	v_pk_fma_f32 v[12:13], v[12:13], v[42:43], v[38:39] op_sel_hi:[1,0,1]
	v_addc_co_u32_e32 v15, vcc, v15, v1, vcc
	s_cbranch_scc0 .LBB2_74
	s_branch .LBB2_72
.LBB2_75:                               ;   in Loop: Header=BB2_4 Depth=1
	s_or_b64 exec, exec, s[76:77]
	s_mov_b64 s[76:77], 0
.LBB2_76:                               ;   in Loop: Header=BB2_4 Depth=1
	s_andn2_b64 vcc, exec, s[76:77]
	s_cbranch_vccnz .LBB2_3
; %bb.77:                               ;   in Loop: Header=BB2_4 Depth=1
	v_readlane_b32 s44, v48, 4
	v_readlane_b32 s45, v48, 5
	s_andn2_b64 vcc, exec, s[44:45]
	s_mov_b64 s[76:77], -1
	s_cbranch_vccnz .LBB2_84
; %bb.78:                               ;   in Loop: Header=BB2_4 Depth=1
	s_and_saveexec_b64 s[76:77], s[2:3]
	s_cbranch_execz .LBB2_83
; %bb.79:                               ;   in Loop: Header=BB2_4 Depth=1
	s_mov_b64 s[78:79], 0
	v_mov_b32_e32 v6, v0
	s_branch .LBB2_81
.LBB2_80:                               ;   in Loop: Header=BB2_81 Depth=2
	v_add_u32_e32 v6, s4, v6
	v_cmp_le_i32_e32 vcc, s19, v6
	v_mov_b32_e32 v1, s65
	s_or_b64 s[78:79], vcc, s[78:79]
	v_add_co_u32_e32 v4, vcc, s64, v4
	v_addc_co_u32_e32 v5, vcc, v5, v1, vcc
	s_waitcnt vmcnt(0)
	global_store_dwordx2 v[8:9], v[10:11], off
	s_andn2_b64 exec, exec, s[78:79]
	s_cbranch_execz .LBB2_83
.LBB2_81:                               ;   Parent Loop BB2_4 Depth=1
                                        ; =>  This Loop Header: Depth=2
                                        ;       Child Loop BB2_82 Depth 3
	v_ashrrev_i32_e32 v7, 31, v6
	v_lshlrev_b64 v[8:9], 3, v[6:7]
	v_mov_b32_e32 v1, s55
	v_add_co_u32_e32 v8, vcc, s54, v8
	v_addc_co_u32_e32 v9, vcc, v1, v9, vcc
	global_load_dwordx2 v[10:11], v[8:9], off
	s_andn2_b64 vcc, exec, s[46:47]
	v_pk_mov_b32 v[12:13], v[4:5], v[4:5] op_sel:[0,1]
	s_mov_b64 s[80:81], s[74:75]
	s_mov_b64 s[82:83], s[72:73]
	s_mov_b32 s48, s93
	s_cbranch_vccnz .LBB2_80
.LBB2_82:                               ;   Parent Loop BB2_4 Depth=1
                                        ;     Parent Loop BB2_81 Depth=2
                                        ; =>    This Inner Loop Header: Depth=3
	global_load_dword v14, v36, s[80:81]
	global_load_dwordx2 v[38:39], v[12:13], off offset:-4
	global_load_dword v40, v36, s[82:83]
	s_add_i32 s48, s48, -1
	s_add_u32 s82, s82, -4
	s_addc_u32 s83, s83, -1
	s_add_u32 s80, s80, -4
	v_mov_b32_e32 v1, s95
	s_addc_u32 s81, s81, -1
	s_cmp_lt_u32 s48, 3
	s_waitcnt vmcnt(2)
	v_mul_f32_e32 v7, v10, v14
	v_mul_f32_e32 v37, v11, v14
	s_waitcnt vmcnt(1)
	v_pk_mul_f32 v[14:15], v[14:15], v[38:39] op_sel_hi:[0,1]
	s_waitcnt vmcnt(0)
	v_fma_f32 v38, v40, v38, -v7
	v_fma_f32 v39, v40, v39, -v37
	global_store_dwordx2 v[12:13], v[38:39], off offset:-4
	v_add_co_u32_e32 v12, vcc, s94, v12
	v_pk_fma_f32 v[10:11], v[10:11], v[40:41], v[14:15] op_sel_hi:[1,0,1]
	v_addc_co_u32_e32 v13, vcc, v13, v1, vcc
	s_cbranch_scc0 .LBB2_82
	s_branch .LBB2_80
.LBB2_83:                               ;   in Loop: Header=BB2_4 Depth=1
	s_or_b64 exec, exec, s[76:77]
	s_mov_b64 s[76:77], 0
.LBB2_84:                               ;   in Loop: Header=BB2_4 Depth=1
	s_andn2_b64 vcc, exec, s[76:77]
	s_cbranch_vccnz .LBB2_3
; %bb.85:                               ;   in Loop: Header=BB2_4 Depth=1
	v_readlane_b32 s44, v48, 6
	v_readlane_b32 s45, v48, 7
	s_andn2_b64 vcc, exec, s[44:45]
	s_mov_b64 s[76:77], -1
	s_cbranch_vccnz .LBB2_92
; %bb.86:                               ;   in Loop: Header=BB2_4 Depth=1
	s_and_saveexec_b64 s[76:77], s[2:3]
	s_cbranch_execz .LBB2_91
; %bb.87:                               ;   in Loop: Header=BB2_4 Depth=1
	s_lshl_b64 s[44:45], s[66:67], 3
	v_mov_b32_e32 v1, s52
	v_add_co_u32_e32 v4, vcc, s53, v32
	s_add_u32 s50, s54, s44
	v_addc_co_u32_e32 v5, vcc, v33, v1, vcc
	s_addc_u32 s51, s55, s45
	s_mov_b64 s[78:79], 0
	v_mov_b32_e32 v6, v0
	s_branch .LBB2_89
.LBB2_88:                               ;   in Loop: Header=BB2_89 Depth=2
	v_add_u32_e32 v6, s4, v6
	v_cmp_le_i32_e32 vcc, s19, v6
	v_mov_b32_e32 v1, s65
	s_or_b64 s[78:79], vcc, s[78:79]
	v_add_co_u32_e32 v4, vcc, s64, v4
	v_addc_co_u32_e32 v5, vcc, v5, v1, vcc
	s_waitcnt vmcnt(0)
	global_store_dwordx2 v[8:9], v[10:11], off
	s_andn2_b64 exec, exec, s[78:79]
	s_cbranch_execz .LBB2_91
.LBB2_89:                               ;   Parent Loop BB2_4 Depth=1
                                        ; =>  This Loop Header: Depth=2
                                        ;       Child Loop BB2_90 Depth 3
	v_ashrrev_i32_e32 v7, 31, v6
	v_lshlrev_b64 v[8:9], 3, v[6:7]
	v_mov_b32_e32 v1, s51
	v_add_co_u32_e32 v8, vcc, s50, v8
	v_addc_co_u32_e32 v9, vcc, v1, v9, vcc
	global_load_dwordx2 v[10:11], v[8:9], off
	s_andn2_b64 vcc, exec, s[46:47]
	v_pk_mov_b32 v[12:13], v[4:5], v[4:5] op_sel:[0,1]
	s_mov_b64 s[80:81], s[70:71]
	s_mov_b64 s[82:83], s[68:69]
	s_mov_b32 s48, s18
	s_cbranch_vccnz .LBB2_88
.LBB2_90:                               ;   Parent Loop BB2_4 Depth=1
                                        ;     Parent Loop BB2_89 Depth=2
                                        ; =>    This Inner Loop Header: Depth=3
	global_load_dwordx2 v[14:15], v[12:13], off offset:-4
	global_load_dword v38, v36, s[82:83]
	global_load_dword v40, v36, s[80:81]
	s_add_i32 s48, s48, -1
	s_add_u32 s82, s82, 4
	s_addc_u32 s83, s83, 0
	s_add_u32 s80, s80, 4
	v_mov_b32_e32 v1, s63
	s_addc_u32 s81, s81, 0
	s_cmp_eq_u32 s48, 0
	s_waitcnt vmcnt(1)
	v_mul_f32_e32 v42, v38, v14
	v_mul_f32_e32 v43, v38, v15
	s_waitcnt vmcnt(0)
	v_fmac_f32_e32 v42, v10, v40
	v_fmac_f32_e32 v43, v11, v40
	v_pk_mul_f32 v[14:15], v[40:41], v[14:15] op_sel_hi:[0,1]
	global_store_dwordx2 v[12:13], v[42:43], off offset:-4
	v_add_co_u32_e32 v12, vcc, s62, v12
	v_pk_fma_f32 v[10:11], v[10:11], v[38:39], v[14:15] op_sel_hi:[1,0,1] neg_lo:[0,0,1] neg_hi:[0,0,1]
	v_addc_co_u32_e32 v13, vcc, v13, v1, vcc
	s_cbranch_scc0 .LBB2_90
	s_branch .LBB2_88
.LBB2_91:                               ;   in Loop: Header=BB2_4 Depth=1
	s_or_b64 exec, exec, s[76:77]
	s_mov_b64 s[76:77], 0
.LBB2_92:                               ;   in Loop: Header=BB2_4 Depth=1
	s_andn2_b64 vcc, exec, s[76:77]
	s_cbranch_vccnz .LBB2_3
; %bb.93:                               ;   in Loop: Header=BB2_4 Depth=1
	s_mov_b64 s[68:69], exec
	v_readlane_b32 s44, v48, 8
	v_readlane_b32 s45, v48, 9
	s_and_b64 s[44:45], s[68:69], s[44:45]
	s_mov_b64 exec, s[44:45]
	s_cbranch_execz .LBB2_2
; %bb.94:                               ;   in Loop: Header=BB2_4 Depth=1
	s_lshl_b64 s[44:45], s[66:67], 3
	v_mov_b32_e32 v1, s52
	v_add_co_u32_e32 v4, vcc, s53, v34
	s_add_u32 s50, s54, s44
	v_addc_co_u32_e32 v5, vcc, v35, v1, vcc
	s_addc_u32 s51, s55, s45
	s_mov_b64 s[70:71], 0
	v_mov_b32_e32 v6, v0
	s_branch .LBB2_96
.LBB2_95:                               ;   in Loop: Header=BB2_96 Depth=2
	v_add_u32_e32 v6, s4, v6
	v_cmp_le_i32_e32 vcc, s19, v6
	v_mov_b32_e32 v1, s65
	s_or_b64 s[70:71], vcc, s[70:71]
	v_add_co_u32_e32 v4, vcc, s64, v4
	v_addc_co_u32_e32 v5, vcc, v5, v1, vcc
	s_waitcnt vmcnt(0)
	global_store_dwordx2 v[8:9], v[10:11], off
	s_andn2_b64 exec, exec, s[70:71]
	s_cbranch_execz .LBB2_2
.LBB2_96:                               ;   Parent Loop BB2_4 Depth=1
                                        ; =>  This Loop Header: Depth=2
                                        ;       Child Loop BB2_97 Depth 3
	v_ashrrev_i32_e32 v7, 31, v6
	v_lshlrev_b64 v[8:9], 3, v[6:7]
	v_mov_b32_e32 v1, s51
	v_add_co_u32_e32 v8, vcc, s50, v8
	v_addc_co_u32_e32 v9, vcc, v1, v9, vcc
	global_load_dwordx2 v[10:11], v[8:9], off
	s_andn2_b64 vcc, exec, s[46:47]
	v_pk_mov_b32 v[12:13], v[4:5], v[4:5] op_sel:[0,1]
	s_mov_b64 s[76:77], s[74:75]
	s_mov_b64 s[78:79], s[72:73]
	s_mov_b32 s48, s18
	s_cbranch_vccnz .LBB2_95
.LBB2_97:                               ;   Parent Loop BB2_4 Depth=1
                                        ;     Parent Loop BB2_96 Depth=2
                                        ; =>    This Inner Loop Header: Depth=3
	global_load_dwordx2 v[14:15], v[12:13], off offset:-4
	global_load_dword v38, v36, s[78:79]
	global_load_dword v40, v36, s[76:77]
	s_add_i32 s48, s48, -1
	s_add_u32 s78, s78, -4
	s_addc_u32 s79, s79, -1
	s_add_u32 s76, s76, -4
	v_mov_b32_e32 v1, s95
	s_addc_u32 s77, s77, -1
	s_cmp_eq_u32 s48, 0
	s_waitcnt vmcnt(1)
	v_mul_f32_e32 v42, v38, v14
	v_mul_f32_e32 v43, v38, v15
	s_waitcnt vmcnt(0)
	v_fmac_f32_e32 v42, v10, v40
	v_fmac_f32_e32 v43, v11, v40
	v_pk_mul_f32 v[14:15], v[40:41], v[14:15] op_sel_hi:[0,1]
	global_store_dwordx2 v[12:13], v[42:43], off offset:-4
	v_add_co_u32_e32 v12, vcc, s94, v12
	v_pk_fma_f32 v[10:11], v[10:11], v[38:39], v[14:15] op_sel_hi:[1,0,1] neg_lo:[0,0,1] neg_hi:[0,0,1]
	v_addc_co_u32_e32 v13, vcc, v13, v1, vcc
	s_cbranch_scc0 .LBB2_97
	s_branch .LBB2_95
.LBB2_98:
	s_endpgm
	.section	.rodata,"a",@progbits
	.p2align	6, 0x0
	.amdhsa_kernel _ZN9rocsolver6v33100L11lasr_kernelI19rocblas_complex_numIfEfPS3_iEEv13rocblas_side_14rocblas_pivot_15rocblas_direct_T2_S8_PT0_lSA_lT1_lS8_lS8_
		.amdhsa_group_segment_fixed_size 0
		.amdhsa_private_segment_fixed_size 0
		.amdhsa_kernarg_size 352
		.amdhsa_user_sgpr_count 6
		.amdhsa_user_sgpr_private_segment_buffer 1
		.amdhsa_user_sgpr_dispatch_ptr 0
		.amdhsa_user_sgpr_queue_ptr 0
		.amdhsa_user_sgpr_kernarg_segment_ptr 1
		.amdhsa_user_sgpr_dispatch_id 0
		.amdhsa_user_sgpr_flat_scratch_init 0
		.amdhsa_user_sgpr_kernarg_preload_length 0
		.amdhsa_user_sgpr_kernarg_preload_offset 0
		.amdhsa_user_sgpr_private_segment_size 0
		.amdhsa_uses_dynamic_stack 0
		.amdhsa_system_sgpr_private_segment_wavefront_offset 0
		.amdhsa_system_sgpr_workgroup_id_x 1
		.amdhsa_system_sgpr_workgroup_id_y 0
		.amdhsa_system_sgpr_workgroup_id_z 1
		.amdhsa_system_sgpr_workgroup_info 0
		.amdhsa_system_vgpr_workitem_id 0
		.amdhsa_next_free_vgpr 49
		.amdhsa_next_free_sgpr 96
		.amdhsa_accum_offset 52
		.amdhsa_reserve_vcc 1
		.amdhsa_reserve_flat_scratch 0
		.amdhsa_float_round_mode_32 0
		.amdhsa_float_round_mode_16_64 0
		.amdhsa_float_denorm_mode_32 3
		.amdhsa_float_denorm_mode_16_64 3
		.amdhsa_dx10_clamp 1
		.amdhsa_ieee_mode 1
		.amdhsa_fp16_overflow 0
		.amdhsa_tg_split 0
		.amdhsa_exception_fp_ieee_invalid_op 0
		.amdhsa_exception_fp_denorm_src 0
		.amdhsa_exception_fp_ieee_div_zero 0
		.amdhsa_exception_fp_ieee_overflow 0
		.amdhsa_exception_fp_ieee_underflow 0
		.amdhsa_exception_fp_ieee_inexact 0
		.amdhsa_exception_int_div_zero 0
	.end_amdhsa_kernel
	.section	.text._ZN9rocsolver6v33100L11lasr_kernelI19rocblas_complex_numIfEfPS3_iEEv13rocblas_side_14rocblas_pivot_15rocblas_direct_T2_S8_PT0_lSA_lT1_lS8_lS8_,"axG",@progbits,_ZN9rocsolver6v33100L11lasr_kernelI19rocblas_complex_numIfEfPS3_iEEv13rocblas_side_14rocblas_pivot_15rocblas_direct_T2_S8_PT0_lSA_lT1_lS8_lS8_,comdat
.Lfunc_end2:
	.size	_ZN9rocsolver6v33100L11lasr_kernelI19rocblas_complex_numIfEfPS3_iEEv13rocblas_side_14rocblas_pivot_15rocblas_direct_T2_S8_PT0_lSA_lT1_lS8_lS8_, .Lfunc_end2-_ZN9rocsolver6v33100L11lasr_kernelI19rocblas_complex_numIfEfPS3_iEEv13rocblas_side_14rocblas_pivot_15rocblas_direct_T2_S8_PT0_lSA_lT1_lS8_lS8_
                                        ; -- End function
	.section	.AMDGPU.csdata,"",@progbits
; Kernel info:
; codeLenInByte = 4668
; NumSgprs: 100
; NumVgprs: 49
; NumAgprs: 0
; TotalNumVgprs: 49
; ScratchSize: 0
; MemoryBound: 0
; FloatMode: 240
; IeeeMode: 1
; LDSByteSize: 0 bytes/workgroup (compile time only)
; SGPRBlocks: 12
; VGPRBlocks: 6
; NumSGPRsForWavesPerEU: 100
; NumVGPRsForWavesPerEU: 49
; AccumOffset: 52
; Occupancy: 8
; WaveLimiterHint : 0
; COMPUTE_PGM_RSRC2:SCRATCH_EN: 0
; COMPUTE_PGM_RSRC2:USER_SGPR: 6
; COMPUTE_PGM_RSRC2:TRAP_HANDLER: 0
; COMPUTE_PGM_RSRC2:TGID_X_EN: 1
; COMPUTE_PGM_RSRC2:TGID_Y_EN: 0
; COMPUTE_PGM_RSRC2:TGID_Z_EN: 1
; COMPUTE_PGM_RSRC2:TIDIG_COMP_CNT: 0
; COMPUTE_PGM_RSRC3_GFX90A:ACCUM_OFFSET: 12
; COMPUTE_PGM_RSRC3_GFX90A:TG_SPLIT: 0
	.section	.text._ZN9rocsolver6v33100L11lasr_kernelI19rocblas_complex_numIdEdPS3_iEEv13rocblas_side_14rocblas_pivot_15rocblas_direct_T2_S8_PT0_lSA_lT1_lS8_lS8_,"axG",@progbits,_ZN9rocsolver6v33100L11lasr_kernelI19rocblas_complex_numIdEdPS3_iEEv13rocblas_side_14rocblas_pivot_15rocblas_direct_T2_S8_PT0_lSA_lT1_lS8_lS8_,comdat
	.globl	_ZN9rocsolver6v33100L11lasr_kernelI19rocblas_complex_numIdEdPS3_iEEv13rocblas_side_14rocblas_pivot_15rocblas_direct_T2_S8_PT0_lSA_lT1_lS8_lS8_ ; -- Begin function _ZN9rocsolver6v33100L11lasr_kernelI19rocblas_complex_numIdEdPS3_iEEv13rocblas_side_14rocblas_pivot_15rocblas_direct_T2_S8_PT0_lSA_lT1_lS8_lS8_
	.p2align	8
	.type	_ZN9rocsolver6v33100L11lasr_kernelI19rocblas_complex_numIdEdPS3_iEEv13rocblas_side_14rocblas_pivot_15rocblas_direct_T2_S8_PT0_lSA_lT1_lS8_lS8_,@function
_ZN9rocsolver6v33100L11lasr_kernelI19rocblas_complex_numIdEdPS3_iEEv13rocblas_side_14rocblas_pivot_15rocblas_direct_T2_S8_PT0_lSA_lT1_lS8_lS8_: ; @_ZN9rocsolver6v33100L11lasr_kernelI19rocblas_complex_numIdEdPS3_iEEv13rocblas_side_14rocblas_pivot_15rocblas_direct_T2_S8_PT0_lSA_lT1_lS8_lS8_
; %bb.0:
	s_load_dword s33, s[4:5], 0x58
	s_waitcnt lgkmcnt(0)
	s_cmp_ge_u32 s7, s33
	s_cbranch_scc1 .LBB3_98
; %bb.1:
	s_load_dwordx4 s[0:3], s[4:5], 0x38
	s_load_dword s20, s[4:5], 0x48
	s_load_dwordx2 s[22:23], s[4:5], 0x50
	s_load_dword s26, s[4:5], 0x60
	s_load_dwordx2 s[24:25], s[4:5], 0x68
	s_load_dwordx4 s[16:19], s[4:5], 0x0
	s_load_dword s86, s[4:5], 0x10
	s_load_dwordx8 s[8:15], s[4:5], 0x18
	s_waitcnt lgkmcnt(0)
	s_ashr_i32 s21, s20, 31
	s_and_b32 s5, s25, 0xffff
	s_mul_i32 s6, s6, s5
	s_lshl_b64 s[2:3], s[2:3], 4
	v_add_u32_e32 v4, s6, v0
	s_add_u32 s6, s0, s2
	s_addc_u32 s25, s1, s3
	s_cmpk_lg_i32 s16, 0x8d
	s_cselect_b64 s[38:39], -1, 0
	s_cmpk_lg_i32 s16, 0x8e
	s_cselect_b64 s[44:45], -1, 0
	;; [unrolled: 2-line block ×6, first 2 shown]
	s_or_b64 s[28:29], s[38:39], s[42:43]
	s_or_b64 s[16:17], s[28:29], s[52:53]
	s_xor_b64 s[16:17], s[16:17], -1
	s_ashr_i32 s27, s19, 31
	s_add_i32 s62, s19, -2
	s_cmpk_lg_i32 s18, 0xac
	s_cselect_b64 s[54:55], -1, 0
	s_or_b64 s[28:29], s[28:29], s[54:55]
	s_xor_b64 s[28:29], s[28:29], -1
	s_cmp_gt_i32 s19, 1
	s_cselect_b64 s[30:31], -1, 0
	s_or_b64 s[36:37], s[38:39], s[50:51]
	s_or_b64 s[40:41], s[38:39], s[48:49]
	;; [unrolled: 1-line block ×9, first 2 shown]
	s_xor_b64 s[34:35], s[34:35], -1
	s_xor_b64 s[36:37], s[36:37], -1
	;; [unrolled: 1-line block ×5, first 2 shown]
	s_add_i32 s18, s86, -1
	s_xor_b64 s[46:47], s[46:47], -1
                                        ; implicit-def: $vgpr41 : SGPR spill to VGPR lane
	s_add_i32 s68, s86, -2
	v_writelane_b32 v41, s46, 0
	s_cmp_gt_i32 s86, 1
	v_writelane_b32 v41, s47, 1
	s_cselect_b64 s[46:47], -1, 0
	s_or_b64 s[50:51], s[44:45], s[50:51]
	s_or_b64 s[56:57], s[50:51], s[52:53]
	s_xor_b64 s[56:57], s[56:57], -1
	v_writelane_b32 v41, s56, 2
	s_or_b64 s[50:51], s[50:51], s[54:55]
	v_writelane_b32 v41, s57, 3
	s_xor_b64 s[50:51], s[50:51], -1
	s_or_b64 s[44:45], s[44:45], s[48:49]
	v_writelane_b32 v41, s50, 4
	s_or_b64 s[48:49], s[44:45], s[52:53]
	v_writelane_b32 v41, s51, 5
	s_xor_b64 s[48:49], s[48:49], -1
	v_writelane_b32 v41, s48, 6
	v_cmp_le_i32_e32 vcc, s19, v4
	v_writelane_b32 v41, s49, 7
	s_or_b64 s[48:49], s[54:55], vcc
	s_or_b64 s[44:45], s[44:45], s[48:49]
	s_xor_b64 s[44:45], s[44:45], -1
	s_mul_i32 s4, s26, s5
	v_writelane_b32 v41, s44, 8
	v_writelane_b32 v41, s45, 9
	s_mul_hi_i32 s45, s20, s4
	s_mul_i32 s44, s20, s4
	s_mov_b32 s63, 0
	s_add_i32 s56, s19, -1
	s_lshl_b64 s[14:15], s[14:15], 3
	s_lshl_b64 s[10:11], s[10:11], 3
	;; [unrolled: 1-line block ×3, first 2 shown]
	s_ashr_i32 s5, s4, 31
	s_lshl_b64 s[60:61], s[44:45], 4
	s_lshl_b64 s[44:45], s[62:63], 3
	s_add_u32 s87, s8, s44
	s_addc_u32 s88, s9, s45
	s_add_u32 s89, s12, s44
	s_mul_i32 s26, s21, s68
	s_mul_hi_u32 s48, s20, s68
	s_addc_u32 s90, s13, s45
	s_mov_b32 s57, s63
	s_add_i32 s49, s48, s26
	s_mul_i32 s48, s20, s68
	s_mov_b32 s69, s63
	s_lshl_b64 s[44:45], s[62:63], 4
	s_lshl_b64 s[48:49], s[48:49], 4
	s_add_i32 s91, s19, 1
	s_lshl_b64 s[50:51], s[56:57], 4
	s_lshl_b64 s[62:63], s[4:5], 4
	s_lshl_b64 s[64:65], s[20:21], 4
	s_add_u32 s5, s48, s2
	s_addc_u32 s26, s49, s3
	s_add_u32 s52, s0, s5
	s_mul_i32 s5, s21, s18
	s_mul_hi_u32 s21, s20, s18
	s_mul_i32 s66, s20, s18
	s_addc_u32 s26, s1, s26
	s_add_i32 s49, s21, s5
	s_mov_b32 s48, s66
	s_lshl_b64 s[48:49], s[48:49], 4
	s_add_u32 s5, s48, s2
	s_addc_u32 s21, s49, s3
	s_add_u32 s53, s0, s5
	s_addc_u32 s54, s1, s21
	s_lshl_b64 s[48:49], s[68:69], 3
	s_add_u32 s5, s8, s48
	s_addc_u32 s21, s9, s49
	s_add_u32 s57, s12, s48
	s_addc_u32 s92, s13, s49
	;; [unrolled: 2-line block ×4, first 2 shown]
	v_mad_i64_i32 v[0:1], s[0:1], s20, v4, 0
	v_lshlrev_b64 v[0:1], 4, v[0:1]
	v_mov_b32_e32 v2, s25
	v_add_co_u32_e32 v0, vcc, s6, v0
	v_addc_co_u32_e32 v1, vcc, v2, v1, vcc
	v_add_co_u32_e32 v18, vcc, 24, v0
	v_addc_co_u32_e32 v19, vcc, 0, v1, vcc
	v_mov_b32_e32 v2, s45
	v_add_co_u32_e32 v20, vcc, s44, v0
	v_addc_co_u32_e32 v21, vcc, v1, v2, vcc
	v_add_co_u32_e32 v22, vcc, 16, v0
	v_addc_co_u32_e32 v23, vcc, 0, v1, vcc
	;; [unrolled: 2-line block ×3, first 2 shown]
	v_mov_b32_e32 v0, s51
	v_add_co_u32_e32 v26, vcc, s50, v24
	v_addc_co_u32_e32 v27, vcc, v25, v0, vcc
	v_add_co_u32_e32 v28, vcc, 8, v20
	v_ashrrev_i32_e32 v5, 31, v4
	v_addc_co_u32_e32 v29, vcc, 0, v21, vcc
	v_lshlrev_b64 v[0:1], 4, v[4:5]
	v_mov_b32_e32 v2, s25
	v_add_co_u32_e32 v3, vcc, s6, v0
	v_addc_co_u32_e32 v2, vcc, v2, v1, vcc
	v_add_co_u32_e32 v30, vcc, 8, v3
	v_addc_co_u32_e32 v31, vcc, 0, v2, vcc
	v_mov_b32_e32 v2, s26
	v_add_co_u32_e32 v32, vcc, s52, v0
	v_addc_co_u32_e32 v33, vcc, v2, v1, vcc
	v_mov_b32_e32 v2, s54
	v_add_co_u32_e32 v3, vcc, s53, v0
	v_addc_co_u32_e32 v2, vcc, v2, v1, vcc
	v_add_co_u32_e32 v34, vcc, 8, v3
	v_addc_co_u32_e32 v35, vcc, 0, v2, vcc
	v_mov_b32_e32 v2, s3
	v_add_co_u32_e32 v0, vcc, s2, v0
	v_addc_co_u32_e32 v1, vcc, v2, v1, vcc
	v_add_co_u32_e32 v36, vcc, 8, v0
	v_addc_co_u32_e32 v37, vcc, 0, v1, vcc
	s_add_i32 s93, s86, 1
	v_add_co_u32_e32 v38, vcc, 8, v32
	s_sub_u32 s94, 0, s64
	v_addc_co_u32_e32 v39, vcc, 0, v33, vcc
	s_mov_b32 s26, s19
	s_mul_hi_i32 s67, s20, s18
	v_mov_b32_e32 v40, 0
	s_subb_u32 s95, 0, s65
	v_cmp_gt_i32_e64 s[0:1], s86, v4
	v_cmp_gt_i32_e64 s[2:3], s19, v4
	s_branch .LBB3_4
.LBB3_2:                                ;   in Loop: Header=BB3_4 Depth=1
	s_or_b64 exec, exec, s[68:69]
.LBB3_3:                                ;   in Loop: Header=BB3_4 Depth=1
	s_add_i32 s7, s7, s24
	s_cmp_ge_u32 s7, s33
	s_cbranch_scc1 .LBB3_98
.LBB3_4:                                ; =>This Loop Header: Depth=1
                                        ;     Child Loop BB3_8 Depth 2
                                        ;       Child Loop BB3_9 Depth 3
                                        ;     Child Loop BB3_16 Depth 2
                                        ;       Child Loop BB3_17 Depth 3
	;; [unrolled: 2-line block ×12, first 2 shown]
	s_mul_i32 s44, s11, s7
	s_mul_hi_u32 s45, s10, s7
	s_add_i32 s84, s45, s44
	s_mul_i32 s44, s15, s7
	s_mul_hi_u32 s45, s14, s7
	s_add_i32 s50, s45, s44
	s_mul_i32 s44, s59, s7
	s_mul_hi_u32 s54, s58, s7
	s_mul_i32 s85, s10, s7
	s_add_i32 s54, s54, s44
	s_add_u32 s68, s8, s85
	s_mul_i32 s51, s14, s7
	s_addc_u32 s69, s9, s84
	s_add_u32 s70, s12, s51
	s_mul_i32 s44, s7, s23
	s_mul_hi_u32 s45, s7, s22
	s_addc_u32 s71, s13, s50
	s_add_i32 s45, s45, s44
	s_mul_i32 s44, s7, s22
	s_lshl_b64 s[44:45], s[44:45], 4
	s_add_u32 s52, s6, s44
	s_mul_i32 s55, s58, s7
	s_addc_u32 s53, s25, s45
	s_andn2_b64 vcc, exec, s[16:17]
	s_mov_b64 s[72:73], -1
	s_cbranch_vccnz .LBB3_11
; %bb.5:                                ;   in Loop: Header=BB3_4 Depth=1
	s_and_saveexec_b64 s[72:73], s[0:1]
	s_cbranch_execz .LBB3_10
; %bb.6:                                ;   in Loop: Header=BB3_4 Depth=1
	s_lshl_b64 s[44:45], s[26:27], 4
	v_mov_b32_e32 v0, s54
	v_add_co_u32_e32 v6, vcc, s55, v18
	s_add_u32 s48, s52, s44
	v_addc_co_u32_e32 v7, vcc, v19, v0, vcc
	s_addc_u32 s49, s53, s45
	s_mov_b64 s[74:75], 0
	v_mov_b32_e32 v5, s53
	v_mov_b32_e32 v12, v4
	s_branch .LBB3_8
.LBB3_7:                                ;   in Loop: Header=BB3_8 Depth=2
	v_mov_b32_e32 v10, s49
	v_add_co_u32_e32 v8, vcc, s48, v8
	v_addc_co_u32_e32 v9, vcc, v10, v9, vcc
	v_add_u32_e32 v12, s4, v12
	v_cmp_le_i32_e32 vcc, s86, v12
	s_waitcnt vmcnt(0)
	global_store_dwordx4 v[8:9], v[0:3], off offset:-16
	s_or_b64 s[74:75], vcc, s[74:75]
	v_mov_b32_e32 v0, s61
	v_add_co_u32_e32 v6, vcc, s60, v6
	v_addc_co_u32_e32 v7, vcc, v7, v0, vcc
	s_andn2_b64 exec, exec, s[74:75]
	s_cbranch_execz .LBB3_10
.LBB3_8:                                ;   Parent Loop BB3_4 Depth=1
                                        ; =>  This Loop Header: Depth=2
                                        ;       Child Loop BB3_9 Depth 3
	v_mad_i64_i32 v[0:1], s[44:45], v12, s20, 0
	v_lshlrev_b64 v[8:9], 4, v[0:1]
	v_add_co_u32_e32 v0, vcc, s52, v8
	v_addc_co_u32_e32 v1, vcc, v5, v9, vcc
	global_load_dwordx4 v[0:3], v[0:1], off
	s_andn2_b64 vcc, exec, s[30:31]
	v_pk_mov_b32 v[10:11], v[6:7], v[6:7] op_sel:[0,1]
	s_mov_b64 s[76:77], s[68:69]
	s_mov_b64 s[78:79], s[70:71]
	s_mov_b32 s44, s56
	s_cbranch_vccnz .LBB3_7
.LBB3_9:                                ;   Parent Loop BB3_4 Depth=1
                                        ;     Parent Loop BB3_8 Depth=2
                                        ; =>    This Inner Loop Header: Depth=3
	global_load_dwordx2 v[46:47], v40, s[78:79]
	global_load_dwordx4 v[14:17], v[10:11], off offset:-8
	global_load_dwordx2 v[48:49], v40, s[76:77]
	s_add_i32 s44, s44, -1
	s_add_u32 s78, s78, 8
	s_addc_u32 s79, s79, 0
	s_add_u32 s76, s76, 8
	s_addc_u32 s77, s77, 0
	s_cmp_eq_u32 s44, 0
	s_waitcnt vmcnt(2)
	v_mul_f64 v[50:51], v[0:1], v[46:47]
	s_waitcnt vmcnt(1)
	v_mul_f64 v[42:43], v[46:47], v[14:15]
	v_mul_f64 v[44:45], v[46:47], v[16:17]
	s_waitcnt vmcnt(0)
	v_fmac_f64_e32 v[42:43], v[0:1], v[48:49]
	v_fmac_f64_e32 v[44:45], v[2:3], v[48:49]
	v_mul_f64 v[46:47], v[2:3], v[46:47]
	global_store_dwordx4 v[10:11], v[42:45], off offset:-24
	v_add_co_u32_e32 v10, vcc, 16, v10
	v_fma_f64 v[0:1], v[48:49], v[14:15], -v[50:51]
	v_fma_f64 v[2:3], v[48:49], v[16:17], -v[46:47]
	v_addc_co_u32_e32 v11, vcc, 0, v11, vcc
	s_cbranch_scc0 .LBB3_9
	s_branch .LBB3_7
.LBB3_10:                               ;   in Loop: Header=BB3_4 Depth=1
	s_or_b64 exec, exec, s[72:73]
	s_mov_b64 s[72:73], 0
.LBB3_11:                               ;   in Loop: Header=BB3_4 Depth=1
	s_andn2_b64 vcc, exec, s[72:73]
	s_cbranch_vccnz .LBB3_3
; %bb.12:                               ;   in Loop: Header=BB3_4 Depth=1
	s_add_u32 s72, s87, s85
	s_addc_u32 s73, s88, s84
	s_add_u32 s74, s89, s51
	s_addc_u32 s75, s90, s50
	s_andn2_b64 vcc, exec, s[28:29]
	s_mov_b64 s[76:77], -1
	s_cbranch_vccnz .LBB3_19
; %bb.13:                               ;   in Loop: Header=BB3_4 Depth=1
	s_and_saveexec_b64 s[76:77], s[0:1]
	s_cbranch_execz .LBB3_18
; %bb.14:                               ;   in Loop: Header=BB3_4 Depth=1
	s_lshl_b64 s[44:45], s[26:27], 4
	v_mov_b32_e32 v0, s54
	v_add_co_u32_e32 v6, vcc, s55, v20
	s_add_u32 s48, s52, s44
	v_addc_co_u32_e32 v7, vcc, v21, v0, vcc
	s_addc_u32 s49, s53, s45
	s_mov_b64 s[78:79], 0
	v_mov_b32_e32 v5, v4
	s_branch .LBB3_16
.LBB3_15:                               ;   in Loop: Header=BB3_16 Depth=2
	v_mov_b32_e32 v10, s53
	v_add_co_u32_e32 v8, vcc, s52, v8
	v_addc_co_u32_e32 v9, vcc, v10, v9, vcc
	v_add_u32_e32 v5, s4, v5
	v_cmp_le_i32_e32 vcc, s86, v5
	s_waitcnt vmcnt(0)
	global_store_dwordx4 v[8:9], v[0:3], off
	s_or_b64 s[78:79], vcc, s[78:79]
	v_mov_b32_e32 v0, s61
	v_add_co_u32_e32 v6, vcc, s60, v6
	v_addc_co_u32_e32 v7, vcc, v7, v0, vcc
	s_andn2_b64 exec, exec, s[78:79]
	s_cbranch_execz .LBB3_18
.LBB3_16:                               ;   Parent Loop BB3_4 Depth=1
                                        ; =>  This Loop Header: Depth=2
                                        ;       Child Loop BB3_17 Depth 3
	v_mad_i64_i32 v[0:1], s[44:45], v5, s20, 0
	v_lshlrev_b64 v[8:9], 4, v[0:1]
	v_mov_b32_e32 v1, s49
	v_add_co_u32_e32 v0, vcc, s48, v8
	v_addc_co_u32_e32 v1, vcc, v1, v9, vcc
	global_load_dwordx4 v[0:3], v[0:1], off offset:-16
	s_andn2_b64 vcc, exec, s[30:31]
	v_pk_mov_b32 v[10:11], v[6:7], v[6:7] op_sel:[0,1]
	s_mov_b64 s[80:81], s[74:75]
	s_mov_b64 s[82:83], s[72:73]
	s_mov_b32 s44, s56
	s_cbranch_vccnz .LBB3_15
.LBB3_17:                               ;   Parent Loop BB3_4 Depth=1
                                        ;     Parent Loop BB3_16 Depth=2
                                        ; =>    This Inner Loop Header: Depth=3
	global_load_dwordx4 v[12:15], v[10:11], off
	global_load_dwordx2 v[16:17], v40, s[80:81]
	global_load_dwordx2 v[42:43], v40, s[82:83]
	s_add_i32 s44, s44, -1
	s_add_u32 s82, s82, -8
	s_waitcnt vmcnt(3)
	v_pk_mov_b32 v[44:45], v[2:3], v[2:3] op_sel:[0,1]
	v_pk_mov_b32 v[46:47], v[0:1], v[0:1] op_sel:[0,1]
	s_addc_u32 s83, s83, -1
	s_add_u32 s80, s80, -8
	s_addc_u32 s81, s81, -1
	s_cmp_eq_u32 s44, 0
	s_waitcnt vmcnt(1)
	v_mul_f64 v[48:49], v[16:17], v[12:13]
	v_mul_f64 v[50:51], v[16:17], v[14:15]
	s_waitcnt vmcnt(0)
	v_mul_f64 v[0:1], v[42:43], v[12:13]
	v_mul_f64 v[2:3], v[42:43], v[14:15]
	v_fma_f64 v[12:13], v[46:47], v[42:43], -v[48:49]
	v_fma_f64 v[14:15], v[44:45], v[42:43], -v[50:51]
	global_store_dwordx4 v[10:11], v[12:15], off offset:16
	v_add_co_u32_e32 v10, vcc, -16, v10
	v_fmac_f64_e32 v[0:1], v[46:47], v[16:17]
	v_fmac_f64_e32 v[2:3], v[44:45], v[16:17]
	v_addc_co_u32_e32 v11, vcc, -1, v11, vcc
	s_cbranch_scc0 .LBB3_17
	s_branch .LBB3_15
.LBB3_18:                               ;   in Loop: Header=BB3_4 Depth=1
	s_or_b64 exec, exec, s[76:77]
	s_mov_b64 s[76:77], 0
.LBB3_19:                               ;   in Loop: Header=BB3_4 Depth=1
	s_andn2_b64 vcc, exec, s[76:77]
	s_cbranch_vccnz .LBB3_3
; %bb.20:                               ;   in Loop: Header=BB3_4 Depth=1
	s_andn2_b64 vcc, exec, s[34:35]
	s_mov_b64 s[76:77], -1
	s_cbranch_vccnz .LBB3_27
; %bb.21:                               ;   in Loop: Header=BB3_4 Depth=1
	s_and_saveexec_b64 s[76:77], s[0:1]
	s_cbranch_execz .LBB3_26
; %bb.22:                               ;   in Loop: Header=BB3_4 Depth=1
	v_mov_b32_e32 v0, s54
	v_add_co_u32_e32 v6, vcc, s55, v22
	v_addc_co_u32_e32 v7, vcc, v23, v0, vcc
	s_mov_b64 s[78:79], 0
	v_mov_b32_e32 v5, v4
	s_branch .LBB3_24
.LBB3_23:                               ;   in Loop: Header=BB3_24 Depth=2
	v_add_u32_e32 v5, s4, v5
	v_cmp_le_i32_e32 vcc, s86, v5
	s_waitcnt vmcnt(0)
	global_store_dwordx4 v[8:9], v[0:3], off
	s_or_b64 s[78:79], vcc, s[78:79]
	v_mov_b32_e32 v0, s61
	v_add_co_u32_e32 v6, vcc, s60, v6
	v_addc_co_u32_e32 v7, vcc, v7, v0, vcc
	s_andn2_b64 exec, exec, s[78:79]
	s_cbranch_execz .LBB3_26
.LBB3_24:                               ;   Parent Loop BB3_4 Depth=1
                                        ; =>  This Loop Header: Depth=2
                                        ;       Child Loop BB3_25 Depth 3
	v_mad_i64_i32 v[0:1], s[44:45], v5, s20, 0
	v_lshlrev_b64 v[0:1], 4, v[0:1]
	v_mov_b32_e32 v2, s53
	v_add_co_u32_e32 v8, vcc, s52, v0
	v_addc_co_u32_e32 v9, vcc, v2, v1, vcc
	global_load_dwordx4 v[0:3], v[8:9], off
	s_andn2_b64 vcc, exec, s[30:31]
	v_pk_mov_b32 v[10:11], v[6:7], v[6:7] op_sel:[0,1]
	s_mov_b32 s48, s56
	s_mov_b64 s[80:81], s[68:69]
	s_mov_b64 s[82:83], s[70:71]
	s_cbranch_vccnz .LBB3_23
.LBB3_25:                               ;   Parent Loop BB3_4 Depth=1
                                        ;     Parent Loop BB3_24 Depth=2
                                        ; =>    This Inner Loop Header: Depth=3
	global_load_dwordx2 v[16:17], v40, s[82:83]
	global_load_dwordx4 v[12:15], v[10:11], off
	global_load_dwordx2 v[42:43], v40, s[80:81]
	s_waitcnt vmcnt(3)
	v_pk_mov_b32 v[44:45], v[2:3], v[2:3] op_sel:[0,1]
	v_pk_mov_b32 v[46:47], v[0:1], v[0:1] op_sel:[0,1]
	s_add_u32 s82, s82, 8
	s_addc_u32 s83, s83, 0
	s_add_u32 s80, s80, 8
	s_addc_u32 s81, s81, 0
	s_add_i32 s48, s48, -1
	s_cmp_eq_u32 s48, 0
	s_waitcnt vmcnt(2)
	v_mul_f64 v[48:49], v[46:47], v[16:17]
	v_mul_f64 v[50:51], v[44:45], v[16:17]
	s_waitcnt vmcnt(1)
	v_mul_f64 v[0:1], v[16:17], v[12:13]
	v_mul_f64 v[2:3], v[16:17], v[14:15]
	s_waitcnt vmcnt(0)
	v_fma_f64 v[12:13], v[42:43], v[12:13], -v[48:49]
	v_fma_f64 v[14:15], v[42:43], v[14:15], -v[50:51]
	global_store_dwordx4 v[10:11], v[12:15], off
	v_add_co_u32_e32 v10, vcc, 16, v10
	v_fmac_f64_e32 v[0:1], v[46:47], v[42:43]
	v_fmac_f64_e32 v[2:3], v[44:45], v[42:43]
	v_addc_co_u32_e32 v11, vcc, 0, v11, vcc
	s_cbranch_scc0 .LBB3_25
	s_branch .LBB3_23
.LBB3_26:                               ;   in Loop: Header=BB3_4 Depth=1
	s_or_b64 exec, exec, s[76:77]
	s_mov_b64 s[76:77], 0
.LBB3_27:                               ;   in Loop: Header=BB3_4 Depth=1
	s_andn2_b64 vcc, exec, s[76:77]
	s_cbranch_vccnz .LBB3_3
; %bb.28:                               ;   in Loop: Header=BB3_4 Depth=1
	s_andn2_b64 vcc, exec, s[36:37]
	s_mov_b64 s[76:77], -1
	s_cbranch_vccnz .LBB3_35
; %bb.29:                               ;   in Loop: Header=BB3_4 Depth=1
	s_and_saveexec_b64 s[76:77], s[0:1]
	s_cbranch_execz .LBB3_34
; %bb.30:                               ;   in Loop: Header=BB3_4 Depth=1
	v_mov_b32_e32 v0, s54
	v_add_co_u32_e32 v6, vcc, s55, v26
	v_addc_co_u32_e32 v7, vcc, v27, v0, vcc
	s_mov_b64 s[78:79], 0
	v_mov_b32_e32 v5, v4
	s_branch .LBB3_32
.LBB3_31:                               ;   in Loop: Header=BB3_32 Depth=2
	v_add_u32_e32 v5, s4, v5
	v_cmp_le_i32_e32 vcc, s86, v5
	s_waitcnt vmcnt(0)
	global_store_dwordx4 v[8:9], v[0:3], off
	s_or_b64 s[78:79], vcc, s[78:79]
	v_mov_b32_e32 v0, s61
	v_add_co_u32_e32 v6, vcc, s60, v6
	v_addc_co_u32_e32 v7, vcc, v7, v0, vcc
	s_andn2_b64 exec, exec, s[78:79]
	s_cbranch_execz .LBB3_34
.LBB3_32:                               ;   Parent Loop BB3_4 Depth=1
                                        ; =>  This Loop Header: Depth=2
                                        ;       Child Loop BB3_33 Depth 3
	v_mad_i64_i32 v[0:1], s[44:45], v5, s20, 0
	v_lshlrev_b64 v[0:1], 4, v[0:1]
	v_mov_b32_e32 v2, s53
	v_add_co_u32_e32 v8, vcc, s52, v0
	v_addc_co_u32_e32 v9, vcc, v2, v1, vcc
	global_load_dwordx4 v[0:3], v[8:9], off
	s_andn2_b64 vcc, exec, s[30:31]
	v_pk_mov_b32 v[10:11], v[6:7], v[6:7] op_sel:[0,1]
	s_mov_b64 s[80:81], s[74:75]
	s_mov_b64 s[82:83], s[72:73]
	s_mov_b32 s44, s91
	s_cbranch_vccnz .LBB3_31
.LBB3_33:                               ;   Parent Loop BB3_4 Depth=1
                                        ;     Parent Loop BB3_32 Depth=2
                                        ; =>    This Inner Loop Header: Depth=3
	global_load_dwordx2 v[16:17], v40, s[80:81]
	global_load_dwordx4 v[12:15], v[10:11], off offset:-8
	global_load_dwordx2 v[42:43], v40, s[82:83]
	s_add_i32 s44, s44, -1
	s_waitcnt vmcnt(3)
	v_pk_mov_b32 v[44:45], v[2:3], v[2:3] op_sel:[0,1]
	v_pk_mov_b32 v[46:47], v[0:1], v[0:1] op_sel:[0,1]
	s_add_u32 s82, s82, -8
	s_addc_u32 s83, s83, -1
	s_add_u32 s80, s80, -8
	s_addc_u32 s81, s81, -1
	s_cmp_lt_u32 s44, 3
	s_waitcnt vmcnt(2)
	v_mul_f64 v[48:49], v[46:47], v[16:17]
	v_mul_f64 v[50:51], v[44:45], v[16:17]
	s_waitcnt vmcnt(1)
	v_mul_f64 v[0:1], v[16:17], v[12:13]
	v_mul_f64 v[2:3], v[16:17], v[14:15]
	s_waitcnt vmcnt(0)
	v_fma_f64 v[12:13], v[42:43], v[12:13], -v[48:49]
	v_fma_f64 v[14:15], v[42:43], v[14:15], -v[50:51]
	global_store_dwordx4 v[10:11], v[12:15], off offset:-8
	v_add_co_u32_e32 v10, vcc, -16, v10
	v_fmac_f64_e32 v[0:1], v[46:47], v[42:43]
	v_fmac_f64_e32 v[2:3], v[44:45], v[42:43]
	v_addc_co_u32_e32 v11, vcc, -1, v11, vcc
	s_cbranch_scc0 .LBB3_33
	s_branch .LBB3_31
.LBB3_34:                               ;   in Loop: Header=BB3_4 Depth=1
	s_or_b64 exec, exec, s[76:77]
	s_mov_b64 s[76:77], 0
.LBB3_35:                               ;   in Loop: Header=BB3_4 Depth=1
	s_andn2_b64 vcc, exec, s[76:77]
	s_cbranch_vccnz .LBB3_3
; %bb.36:                               ;   in Loop: Header=BB3_4 Depth=1
	s_andn2_b64 vcc, exec, s[38:39]
	s_mov_b64 s[76:77], -1
	s_cbranch_vccnz .LBB3_43
; %bb.37:                               ;   in Loop: Header=BB3_4 Depth=1
	s_and_saveexec_b64 s[76:77], s[0:1]
	s_cbranch_execz .LBB3_42
; %bb.38:                               ;   in Loop: Header=BB3_4 Depth=1
	s_lshl_b64 s[44:45], s[26:27], 4
	v_mov_b32_e32 v0, s54
	v_add_co_u32_e32 v6, vcc, s55, v24
	s_add_u32 s48, s52, s44
	v_addc_co_u32_e32 v7, vcc, v25, v0, vcc
	s_addc_u32 s49, s53, s45
	s_mov_b64 s[78:79], 0
	v_mov_b32_e32 v5, v4
	s_branch .LBB3_40
.LBB3_39:                               ;   in Loop: Header=BB3_40 Depth=2
	v_add_u32_e32 v5, s4, v5
	v_cmp_le_i32_e32 vcc, s86, v5
	s_waitcnt vmcnt(0)
	global_store_dwordx4 v[8:9], v[0:3], off offset:-16
	s_or_b64 s[78:79], vcc, s[78:79]
	v_mov_b32_e32 v0, s61
	v_add_co_u32_e32 v6, vcc, s60, v6
	v_addc_co_u32_e32 v7, vcc, v7, v0, vcc
	s_andn2_b64 exec, exec, s[78:79]
	s_cbranch_execz .LBB3_42
.LBB3_40:                               ;   Parent Loop BB3_4 Depth=1
                                        ; =>  This Loop Header: Depth=2
                                        ;       Child Loop BB3_41 Depth 3
	v_mad_i64_i32 v[0:1], s[44:45], v5, s20, 0
	v_lshlrev_b64 v[0:1], 4, v[0:1]
	v_mov_b32_e32 v2, s49
	v_add_co_u32_e32 v8, vcc, s48, v0
	v_addc_co_u32_e32 v9, vcc, v2, v1, vcc
	global_load_dwordx4 v[0:3], v[8:9], off offset:-16
	s_andn2_b64 vcc, exec, s[30:31]
	v_pk_mov_b32 v[10:11], v[6:7], v[6:7] op_sel:[0,1]
	s_mov_b64 s[80:81], s[70:71]
	s_mov_b64 s[82:83], s[68:69]
	s_mov_b32 s44, s56
	s_cbranch_vccnz .LBB3_39
.LBB3_41:                               ;   Parent Loop BB3_4 Depth=1
                                        ;     Parent Loop BB3_40 Depth=2
                                        ; =>    This Inner Loop Header: Depth=3
	global_load_dwordx4 v[12:15], v[10:11], off offset:-8
	global_load_dwordx2 v[16:17], v40, s[82:83]
	global_load_dwordx2 v[46:47], v40, s[80:81]
	s_add_i32 s44, s44, -1
	s_add_u32 s82, s82, 8
	s_addc_u32 s83, s83, 0
	s_add_u32 s80, s80, 8
	s_addc_u32 s81, s81, 0
	s_cmp_eq_u32 s44, 0
	s_waitcnt vmcnt(1)
	v_mul_f64 v[42:43], v[16:17], v[12:13]
	v_mul_f64 v[44:45], v[16:17], v[14:15]
	s_waitcnt vmcnt(0)
	v_fmac_f64_e32 v[42:43], v[0:1], v[46:47]
	v_fmac_f64_e32 v[44:45], v[2:3], v[46:47]
	v_mul_f64 v[12:13], v[46:47], v[12:13]
	v_mul_f64 v[14:15], v[46:47], v[14:15]
	global_store_dwordx4 v[10:11], v[42:45], off offset:-8
	v_add_co_u32_e32 v10, vcc, 16, v10
	v_fma_f64 v[0:1], v[0:1], v[16:17], -v[12:13]
	v_fma_f64 v[2:3], v[2:3], v[16:17], -v[14:15]
	v_addc_co_u32_e32 v11, vcc, 0, v11, vcc
	s_cbranch_scc0 .LBB3_41
	s_branch .LBB3_39
.LBB3_42:                               ;   in Loop: Header=BB3_4 Depth=1
	s_or_b64 exec, exec, s[76:77]
	s_mov_b64 s[76:77], 0
.LBB3_43:                               ;   in Loop: Header=BB3_4 Depth=1
	s_andn2_b64 vcc, exec, s[76:77]
	s_cbranch_vccnz .LBB3_3
; %bb.44:                               ;   in Loop: Header=BB3_4 Depth=1
	s_andn2_b64 vcc, exec, s[40:41]
	s_mov_b64 s[76:77], -1
	s_cbranch_vccnz .LBB3_51
; %bb.45:                               ;   in Loop: Header=BB3_4 Depth=1
	s_and_saveexec_b64 s[76:77], s[0:1]
	s_cbranch_execz .LBB3_50
; %bb.46:                               ;   in Loop: Header=BB3_4 Depth=1
	s_lshl_b64 s[44:45], s[26:27], 4
	v_mov_b32_e32 v0, s54
	v_add_co_u32_e32 v6, vcc, s55, v28
	s_add_u32 s48, s52, s44
	v_addc_co_u32_e32 v7, vcc, v29, v0, vcc
	s_addc_u32 s49, s53, s45
	s_mov_b64 s[78:79], 0
	v_mov_b32_e32 v5, v4
	s_branch .LBB3_48
.LBB3_47:                               ;   in Loop: Header=BB3_48 Depth=2
	v_add_u32_e32 v5, s4, v5
	v_cmp_le_i32_e32 vcc, s86, v5
	s_waitcnt vmcnt(0)
	global_store_dwordx4 v[8:9], v[0:3], off offset:-16
	s_or_b64 s[78:79], vcc, s[78:79]
	v_mov_b32_e32 v0, s61
	v_add_co_u32_e32 v6, vcc, s60, v6
	v_addc_co_u32_e32 v7, vcc, v7, v0, vcc
	s_andn2_b64 exec, exec, s[78:79]
	s_cbranch_execz .LBB3_50
.LBB3_48:                               ;   Parent Loop BB3_4 Depth=1
                                        ; =>  This Loop Header: Depth=2
                                        ;       Child Loop BB3_49 Depth 3
	v_mad_i64_i32 v[0:1], s[44:45], v5, s20, 0
	v_lshlrev_b64 v[0:1], 4, v[0:1]
	v_mov_b32_e32 v2, s49
	v_add_co_u32_e32 v8, vcc, s48, v0
	v_addc_co_u32_e32 v9, vcc, v2, v1, vcc
	global_load_dwordx4 v[0:3], v[8:9], off offset:-16
	s_andn2_b64 vcc, exec, s[30:31]
	v_pk_mov_b32 v[10:11], v[6:7], v[6:7] op_sel:[0,1]
	s_mov_b64 s[80:81], s[74:75]
	s_mov_b64 s[82:83], s[72:73]
	s_mov_b32 s44, s56
	s_cbranch_vccnz .LBB3_47
.LBB3_49:                               ;   Parent Loop BB3_4 Depth=1
                                        ;     Parent Loop BB3_48 Depth=2
                                        ; =>    This Inner Loop Header: Depth=3
	global_load_dwordx4 v[12:15], v[10:11], off offset:-8
	global_load_dwordx2 v[16:17], v40, s[82:83]
	global_load_dwordx2 v[46:47], v40, s[80:81]
	s_add_i32 s44, s44, -1
	s_add_u32 s82, s82, -8
	s_addc_u32 s83, s83, -1
	s_add_u32 s80, s80, -8
	s_addc_u32 s81, s81, -1
	s_cmp_eq_u32 s44, 0
	s_waitcnt vmcnt(1)
	v_mul_f64 v[42:43], v[16:17], v[12:13]
	v_mul_f64 v[44:45], v[16:17], v[14:15]
	s_waitcnt vmcnt(0)
	v_fmac_f64_e32 v[42:43], v[0:1], v[46:47]
	v_fmac_f64_e32 v[44:45], v[2:3], v[46:47]
	v_mul_f64 v[12:13], v[46:47], v[12:13]
	v_mul_f64 v[14:15], v[46:47], v[14:15]
	global_store_dwordx4 v[10:11], v[42:45], off offset:-8
	v_add_co_u32_e32 v10, vcc, -16, v10
	v_fma_f64 v[0:1], v[0:1], v[16:17], -v[12:13]
	v_fma_f64 v[2:3], v[2:3], v[16:17], -v[14:15]
	v_addc_co_u32_e32 v11, vcc, -1, v11, vcc
	s_cbranch_scc0 .LBB3_49
	s_branch .LBB3_47
.LBB3_50:                               ;   in Loop: Header=BB3_4 Depth=1
	s_or_b64 exec, exec, s[76:77]
	s_mov_b64 s[76:77], 0
.LBB3_51:                               ;   in Loop: Header=BB3_4 Depth=1
	s_andn2_b64 vcc, exec, s[76:77]
	s_cbranch_vccnz .LBB3_3
; %bb.52:                               ;   in Loop: Header=BB3_4 Depth=1
	v_mov_b32_e32 v0, s54
	v_add_co_u32_e32 v6, vcc, s55, v30
	v_addc_co_u32_e32 v7, vcc, v31, v0, vcc
	s_andn2_b64 vcc, exec, s[42:43]
	s_mov_b64 s[72:73], -1
	s_cbranch_vccnz .LBB3_59
; %bb.53:                               ;   in Loop: Header=BB3_4 Depth=1
	s_and_saveexec_b64 s[72:73], s[2:3]
	s_cbranch_execz .LBB3_58
; %bb.54:                               ;   in Loop: Header=BB3_4 Depth=1
	s_lshl_b64 s[44:45], s[66:67], 4
	s_add_u32 s48, s52, s44
	s_addc_u32 s49, s53, s45
	s_mov_b64 s[74:75], 0
	v_pk_mov_b32 v[8:9], v[6:7], v[6:7] op_sel:[0,1]
	v_mov_b32_e32 v10, v4
	s_branch .LBB3_56
.LBB3_55:                               ;   in Loop: Header=BB3_56 Depth=2
	v_mov_b32_e32 v5, s49
	v_add_co_u32_e32 v12, vcc, s48, v12
	v_addc_co_u32_e32 v13, vcc, v5, v13, vcc
	v_add_u32_e32 v10, s4, v10
	v_cmp_le_i32_e32 vcc, s19, v10
	s_waitcnt vmcnt(0)
	global_store_dwordx4 v[12:13], v[0:3], off
	s_or_b64 s[74:75], vcc, s[74:75]
	v_mov_b32_e32 v0, s63
	v_add_co_u32_e32 v8, vcc, s62, v8
	v_addc_co_u32_e32 v9, vcc, v9, v0, vcc
	s_andn2_b64 exec, exec, s[74:75]
	s_cbranch_execz .LBB3_58
.LBB3_56:                               ;   Parent Loop BB3_4 Depth=1
                                        ; =>  This Loop Header: Depth=2
                                        ;       Child Loop BB3_57 Depth 3
	v_ashrrev_i32_e32 v11, 31, v10
	v_lshlrev_b64 v[12:13], 4, v[10:11]
	v_mov_b32_e32 v1, s53
	v_add_co_u32_e32 v0, vcc, s52, v12
	v_addc_co_u32_e32 v1, vcc, v1, v13, vcc
	global_load_dwordx4 v[0:3], v[0:1], off
	s_andn2_b64 vcc, exec, s[46:47]
	s_mov_b64 s[76:77], s[70:71]
	s_mov_b64 s[78:79], s[68:69]
	v_pk_mov_b32 v[14:15], v[8:9], v[8:9] op_sel:[0,1]
	s_mov_b32 s44, s18
	s_cbranch_vccnz .LBB3_55
.LBB3_57:                               ;   Parent Loop BB3_4 Depth=1
                                        ;     Parent Loop BB3_56 Depth=2
                                        ; =>    This Inner Loop Header: Depth=3
	v_mov_b32_e32 v5, s65
	v_add_co_u32_e32 v50, vcc, s64, v14
	global_load_dwordx2 v[16:17], v40, s[76:77]
	v_addc_co_u32_e32 v51, vcc, v15, v5, vcc
	global_load_dwordx4 v[42:45], v[50:51], off offset:-8
	global_load_dwordx2 v[52:53], v40, s[78:79]
	s_add_i32 s44, s44, -1
	s_add_u32 s78, s78, 8
	s_addc_u32 s79, s79, 0
	s_add_u32 s76, s76, 8
	s_addc_u32 s77, s77, 0
	s_cmp_eq_u32 s44, 0
	s_waitcnt vmcnt(2)
	v_mul_f64 v[54:55], v[0:1], v[16:17]
	v_mul_f64 v[56:57], v[2:3], v[16:17]
	s_waitcnt vmcnt(1)
	v_mul_f64 v[46:47], v[16:17], v[42:43]
	v_mul_f64 v[48:49], v[16:17], v[44:45]
	s_waitcnt vmcnt(0)
	v_fmac_f64_e32 v[46:47], v[0:1], v[52:53]
	v_fmac_f64_e32 v[48:49], v[2:3], v[52:53]
	v_fma_f64 v[0:1], v[52:53], v[42:43], -v[54:55]
	v_fma_f64 v[2:3], v[52:53], v[44:45], -v[56:57]
	global_store_dwordx4 v[14:15], v[46:49], off offset:-8
	v_pk_mov_b32 v[14:15], v[50:51], v[50:51] op_sel:[0,1]
	s_cbranch_scc0 .LBB3_57
	s_branch .LBB3_55
.LBB3_58:                               ;   in Loop: Header=BB3_4 Depth=1
	s_or_b64 exec, exec, s[72:73]
	s_mov_b64 s[72:73], 0
.LBB3_59:                               ;   in Loop: Header=BB3_4 Depth=1
	s_andn2_b64 vcc, exec, s[72:73]
	s_cbranch_vccnz .LBB3_3
; %bb.60:                               ;   in Loop: Header=BB3_4 Depth=1
	s_add_u32 s72, s5, s85
	s_addc_u32 s73, s21, s84
	v_mov_b32_e32 v0, s54
	v_add_co_u32_e32 v8, vcc, s55, v34
	v_readlane_b32 s44, v41, 0
	s_add_u32 s74, s57, s51
	v_addc_co_u32_e32 v9, vcc, v35, v0, vcc
	v_readlane_b32 s45, v41, 1
	s_addc_u32 s75, s92, s50
	s_andn2_b64 vcc, exec, s[44:45]
	s_mov_b64 s[76:77], -1
	s_cbranch_vccnz .LBB3_68
; %bb.61:                               ;   in Loop: Header=BB3_4 Depth=1
	s_and_saveexec_b64 s[76:77], s[2:3]
	s_cbranch_execz .LBB3_67
; %bb.62:                               ;   in Loop: Header=BB3_4 Depth=1
	s_lshl_b64 s[44:45], s[66:67], 4
	v_mov_b32_e32 v0, s54
	v_add_co_u32_e32 v10, vcc, s55, v32
	s_add_u32 s50, s52, s44
	v_addc_co_u32_e32 v5, vcc, v33, v0, vcc
	s_addc_u32 s51, s53, s45
	s_mov_b64 s[78:79], 0
	v_pk_mov_b32 v[12:13], v[8:9], v[8:9] op_sel:[0,1]
	v_mov_b32_e32 v14, v4
	s_branch .LBB3_64
.LBB3_63:                               ;   in Loop: Header=BB3_64 Depth=2
	v_mov_b32_e32 v11, s53
	v_add_co_u32_e32 v16, vcc, s52, v16
	v_addc_co_u32_e32 v17, vcc, v11, v17, vcc
	s_waitcnt vmcnt(0)
	global_store_dwordx4 v[16:17], v[0:3], off
	v_add_co_u32_e32 v10, vcc, s62, v10
	v_mov_b32_e32 v0, s63
	v_add_u32_e32 v14, s4, v14
	v_addc_co_u32_e32 v5, vcc, v5, v0, vcc
	v_cmp_le_i32_e32 vcc, s19, v14
	s_or_b64 s[78:79], vcc, s[78:79]
	v_add_co_u32_e32 v12, vcc, s62, v12
	v_addc_co_u32_e32 v13, vcc, v13, v0, vcc
	s_andn2_b64 exec, exec, s[78:79]
	s_cbranch_execz .LBB3_67
.LBB3_64:                               ;   Parent Loop BB3_4 Depth=1
                                        ; =>  This Loop Header: Depth=2
                                        ;       Child Loop BB3_66 Depth 3
	v_ashrrev_i32_e32 v15, 31, v14
	v_lshlrev_b64 v[16:17], 4, v[14:15]
	v_mov_b32_e32 v1, s51
	v_add_co_u32_e32 v0, vcc, s50, v16
	v_addc_co_u32_e32 v1, vcc, v1, v17, vcc
	global_load_dwordx4 v[0:3], v[0:1], off
	s_andn2_b64 vcc, exec, s[46:47]
	s_cbranch_vccnz .LBB3_63
; %bb.65:                               ;   in Loop: Header=BB3_64 Depth=2
	s_mov_b64 s[80:81], 0
	s_mov_b64 s[82:83], s[74:75]
	;; [unrolled: 1-line block ×3, first 2 shown]
	s_mov_b32 s48, s18
.LBB3_66:                               ;   Parent Loop BB3_4 Depth=1
                                        ;     Parent Loop BB3_64 Depth=2
                                        ; =>    This Inner Loop Header: Depth=3
	v_mov_b32_e32 v11, s81
	v_add_co_u32_e32 v42, vcc, s80, v10
	v_addc_co_u32_e32 v43, vcc, v5, v11, vcc
	global_load_dwordx2 v[46:47], v40, s[84:85]
	global_load_dwordx2 v[48:49], v40, s[82:83]
	s_add_i32 s48, s48, -1
	global_load_dwordx4 v[42:45], v[42:43], off
	v_add_co_u32_e32 v54, vcc, s80, v12
	s_sub_u32 s80, s80, s64
	s_subb_u32 s81, s81, s65
	s_add_u32 s84, s84, -8
	s_addc_u32 s85, s85, -1
	s_add_u32 s82, s82, -8
	s_waitcnt vmcnt(3)
	v_pk_mov_b32 v[50:51], v[2:3], v[2:3] op_sel:[0,1]
	v_pk_mov_b32 v[52:53], v[0:1], v[0:1] op_sel:[0,1]
	s_addc_u32 s83, s83, -1
	v_addc_co_u32_e32 v55, vcc, v13, v11, vcc
	s_cmp_eq_u32 s48, 0
	s_waitcnt vmcnt(0)
	v_mul_f64 v[56:57], v[48:49], v[42:43]
	v_mul_f64 v[58:59], v[48:49], v[44:45]
	;; [unrolled: 1-line block ×4, first 2 shown]
	v_fma_f64 v[42:43], v[52:53], v[46:47], -v[56:57]
	v_fma_f64 v[44:45], v[50:51], v[46:47], -v[58:59]
	v_fmac_f64_e32 v[0:1], v[52:53], v[48:49]
	v_fmac_f64_e32 v[2:3], v[50:51], v[48:49]
	global_store_dwordx4 v[54:55], v[42:45], off offset:-8
	s_cbranch_scc0 .LBB3_66
	s_branch .LBB3_63
.LBB3_67:                               ;   in Loop: Header=BB3_4 Depth=1
	s_or_b64 exec, exec, s[76:77]
	s_mov_b64 s[76:77], 0
.LBB3_68:                               ;   in Loop: Header=BB3_4 Depth=1
	s_andn2_b64 vcc, exec, s[76:77]
	s_cbranch_vccnz .LBB3_3
; %bb.69:                               ;   in Loop: Header=BB3_4 Depth=1
	v_readlane_b32 s44, v41, 2
	v_readlane_b32 s45, v41, 3
	s_andn2_b64 vcc, exec, s[44:45]
	s_mov_b64 s[76:77], -1
	s_cbranch_vccnz .LBB3_76
; %bb.70:                               ;   in Loop: Header=BB3_4 Depth=1
	s_and_saveexec_b64 s[76:77], s[2:3]
	s_cbranch_execz .LBB3_75
; %bb.71:                               ;   in Loop: Header=BB3_4 Depth=1
	v_mov_b32_e32 v0, s54
	v_add_co_u32_e32 v10, vcc, s55, v36
	v_addc_co_u32_e32 v11, vcc, v37, v0, vcc
	s_mov_b64 s[78:79], 0
	v_mov_b32_e32 v12, v4
	s_branch .LBB3_73
.LBB3_72:                               ;   in Loop: Header=BB3_73 Depth=2
	v_add_u32_e32 v12, s4, v12
	v_cmp_le_i32_e32 vcc, s19, v12
	s_waitcnt vmcnt(0)
	global_store_dwordx4 v[14:15], v[0:3], off
	s_or_b64 s[78:79], vcc, s[78:79]
	v_mov_b32_e32 v0, s63
	v_add_co_u32_e32 v10, vcc, s62, v10
	v_addc_co_u32_e32 v11, vcc, v11, v0, vcc
	s_andn2_b64 exec, exec, s[78:79]
	s_cbranch_execz .LBB3_75
.LBB3_73:                               ;   Parent Loop BB3_4 Depth=1
                                        ; =>  This Loop Header: Depth=2
                                        ;       Child Loop BB3_74 Depth 3
	v_ashrrev_i32_e32 v13, 31, v12
	v_lshlrev_b64 v[0:1], 4, v[12:13]
	v_mov_b32_e32 v2, s53
	v_add_co_u32_e32 v14, vcc, s52, v0
	v_addc_co_u32_e32 v15, vcc, v2, v1, vcc
	global_load_dwordx4 v[0:3], v[14:15], off
	s_andn2_b64 vcc, exec, s[46:47]
	v_pk_mov_b32 v[16:17], v[10:11], v[10:11] op_sel:[0,1]
	s_mov_b32 s48, s18
	s_mov_b64 s[80:81], s[68:69]
	s_mov_b64 s[82:83], s[70:71]
	s_cbranch_vccnz .LBB3_72
.LBB3_74:                               ;   Parent Loop BB3_4 Depth=1
                                        ;     Parent Loop BB3_73 Depth=2
                                        ; =>    This Inner Loop Header: Depth=3
	global_load_dwordx2 v[46:47], v40, s[82:83]
	global_load_dwordx4 v[42:45], v[16:17], off offset:-8
	global_load_dwordx2 v[48:49], v40, s[80:81]
	s_waitcnt vmcnt(3)
	v_pk_mov_b32 v[50:51], v[2:3], v[2:3] op_sel:[0,1]
	v_pk_mov_b32 v[52:53], v[0:1], v[0:1] op_sel:[0,1]
	s_add_u32 s82, s82, 8
	s_addc_u32 s83, s83, 0
	s_add_u32 s80, s80, 8
	v_mov_b32_e32 v5, s65
	s_addc_u32 s81, s81, 0
	s_add_i32 s48, s48, -1
	s_cmp_eq_u32 s48, 0
	s_waitcnt vmcnt(2)
	v_mul_f64 v[54:55], v[52:53], v[46:47]
	v_mul_f64 v[56:57], v[50:51], v[46:47]
	s_waitcnt vmcnt(1)
	v_mul_f64 v[0:1], v[46:47], v[42:43]
	v_mul_f64 v[2:3], v[46:47], v[44:45]
	s_waitcnt vmcnt(0)
	v_fma_f64 v[42:43], v[48:49], v[42:43], -v[54:55]
	v_fma_f64 v[44:45], v[48:49], v[44:45], -v[56:57]
	global_store_dwordx4 v[16:17], v[42:45], off offset:-8
	v_add_co_u32_e32 v16, vcc, s64, v16
	v_fmac_f64_e32 v[0:1], v[52:53], v[48:49]
	v_fmac_f64_e32 v[2:3], v[50:51], v[48:49]
	v_addc_co_u32_e32 v17, vcc, v17, v5, vcc
	s_cbranch_scc0 .LBB3_74
	s_branch .LBB3_72
.LBB3_75:                               ;   in Loop: Header=BB3_4 Depth=1
	s_or_b64 exec, exec, s[76:77]
	s_mov_b64 s[76:77], 0
.LBB3_76:                               ;   in Loop: Header=BB3_4 Depth=1
	s_andn2_b64 vcc, exec, s[76:77]
	s_cbranch_vccnz .LBB3_3
; %bb.77:                               ;   in Loop: Header=BB3_4 Depth=1
	v_readlane_b32 s44, v41, 4
	v_readlane_b32 s45, v41, 5
	s_andn2_b64 vcc, exec, s[44:45]
	s_mov_b64 s[76:77], -1
	s_cbranch_vccnz .LBB3_84
; %bb.78:                               ;   in Loop: Header=BB3_4 Depth=1
	s_and_saveexec_b64 s[76:77], s[2:3]
	s_cbranch_execz .LBB3_83
; %bb.79:                               ;   in Loop: Header=BB3_4 Depth=1
	s_mov_b64 s[78:79], 0
	v_mov_b32_e32 v10, v4
	s_branch .LBB3_81
.LBB3_80:                               ;   in Loop: Header=BB3_81 Depth=2
	v_add_u32_e32 v10, s4, v10
	v_cmp_le_i32_e32 vcc, s19, v10
	s_waitcnt vmcnt(0)
	global_store_dwordx4 v[12:13], v[0:3], off
	s_or_b64 s[78:79], vcc, s[78:79]
	v_mov_b32_e32 v0, s63
	v_add_co_u32_e32 v8, vcc, s62, v8
	v_addc_co_u32_e32 v9, vcc, v9, v0, vcc
	s_andn2_b64 exec, exec, s[78:79]
	s_cbranch_execz .LBB3_83
.LBB3_81:                               ;   Parent Loop BB3_4 Depth=1
                                        ; =>  This Loop Header: Depth=2
                                        ;       Child Loop BB3_82 Depth 3
	v_ashrrev_i32_e32 v11, 31, v10
	v_lshlrev_b64 v[0:1], 4, v[10:11]
	v_mov_b32_e32 v2, s53
	v_add_co_u32_e32 v12, vcc, s52, v0
	v_addc_co_u32_e32 v13, vcc, v2, v1, vcc
	global_load_dwordx4 v[0:3], v[12:13], off
	s_andn2_b64 vcc, exec, s[46:47]
	v_pk_mov_b32 v[14:15], v[8:9], v[8:9] op_sel:[0,1]
	s_mov_b64 s[80:81], s[74:75]
	s_mov_b64 s[82:83], s[72:73]
	s_mov_b32 s48, s93
	s_cbranch_vccnz .LBB3_80
.LBB3_82:                               ;   Parent Loop BB3_4 Depth=1
                                        ;     Parent Loop BB3_81 Depth=2
                                        ; =>    This Inner Loop Header: Depth=3
	global_load_dwordx2 v[16:17], v40, s[80:81]
	global_load_dwordx4 v[42:45], v[14:15], off offset:-8
	global_load_dwordx2 v[46:47], v40, s[82:83]
	s_add_i32 s48, s48, -1
	s_waitcnt vmcnt(3)
	v_pk_mov_b32 v[48:49], v[2:3], v[2:3] op_sel:[0,1]
	v_pk_mov_b32 v[50:51], v[0:1], v[0:1] op_sel:[0,1]
	s_add_u32 s82, s82, -8
	s_addc_u32 s83, s83, -1
	s_add_u32 s80, s80, -8
	v_mov_b32_e32 v5, s95
	s_addc_u32 s81, s81, -1
	s_cmp_lt_u32 s48, 3
	s_waitcnt vmcnt(2)
	v_mul_f64 v[52:53], v[50:51], v[16:17]
	v_mul_f64 v[54:55], v[48:49], v[16:17]
	s_waitcnt vmcnt(1)
	v_mul_f64 v[0:1], v[16:17], v[42:43]
	v_mul_f64 v[2:3], v[16:17], v[44:45]
	s_waitcnt vmcnt(0)
	v_fma_f64 v[42:43], v[46:47], v[42:43], -v[52:53]
	v_fma_f64 v[44:45], v[46:47], v[44:45], -v[54:55]
	global_store_dwordx4 v[14:15], v[42:45], off offset:-8
	v_add_co_u32_e32 v14, vcc, s94, v14
	v_fmac_f64_e32 v[0:1], v[50:51], v[46:47]
	v_fmac_f64_e32 v[2:3], v[48:49], v[46:47]
	v_addc_co_u32_e32 v15, vcc, v15, v5, vcc
	s_cbranch_scc0 .LBB3_82
	s_branch .LBB3_80
.LBB3_83:                               ;   in Loop: Header=BB3_4 Depth=1
	s_or_b64 exec, exec, s[76:77]
	s_mov_b64 s[76:77], 0
.LBB3_84:                               ;   in Loop: Header=BB3_4 Depth=1
	s_andn2_b64 vcc, exec, s[76:77]
	s_cbranch_vccnz .LBB3_3
; %bb.85:                               ;   in Loop: Header=BB3_4 Depth=1
	v_readlane_b32 s44, v41, 6
	v_readlane_b32 s45, v41, 7
	s_andn2_b64 vcc, exec, s[44:45]
	s_mov_b64 s[76:77], -1
	s_cbranch_vccnz .LBB3_92
; %bb.86:                               ;   in Loop: Header=BB3_4 Depth=1
	s_and_saveexec_b64 s[76:77], s[2:3]
	s_cbranch_execz .LBB3_91
; %bb.87:                               ;   in Loop: Header=BB3_4 Depth=1
	s_lshl_b64 s[44:45], s[66:67], 4
	s_add_u32 s48, s52, s44
	s_addc_u32 s49, s53, s45
	s_mov_b64 s[78:79], 0
	v_mov_b32_e32 v8, v4
	s_branch .LBB3_89
.LBB3_88:                               ;   in Loop: Header=BB3_89 Depth=2
	v_add_u32_e32 v8, s4, v8
	v_cmp_le_i32_e32 vcc, s19, v8
	s_waitcnt vmcnt(0)
	global_store_dwordx4 v[10:11], v[0:3], off
	s_or_b64 s[78:79], vcc, s[78:79]
	v_mov_b32_e32 v0, s63
	v_add_co_u32_e32 v6, vcc, s62, v6
	v_addc_co_u32_e32 v7, vcc, v7, v0, vcc
	s_andn2_b64 exec, exec, s[78:79]
	s_cbranch_execz .LBB3_91
.LBB3_89:                               ;   Parent Loop BB3_4 Depth=1
                                        ; =>  This Loop Header: Depth=2
                                        ;       Child Loop BB3_90 Depth 3
	v_ashrrev_i32_e32 v9, 31, v8
	v_lshlrev_b64 v[0:1], 4, v[8:9]
	v_mov_b32_e32 v2, s49
	v_add_co_u32_e32 v10, vcc, s48, v0
	v_addc_co_u32_e32 v11, vcc, v2, v1, vcc
	global_load_dwordx4 v[0:3], v[10:11], off
	s_andn2_b64 vcc, exec, s[46:47]
	v_pk_mov_b32 v[12:13], v[6:7], v[6:7] op_sel:[0,1]
	s_mov_b64 s[80:81], s[70:71]
	s_mov_b64 s[82:83], s[68:69]
	s_mov_b32 s50, s18
	s_cbranch_vccnz .LBB3_88
.LBB3_90:                               ;   Parent Loop BB3_4 Depth=1
                                        ;     Parent Loop BB3_89 Depth=2
                                        ; =>    This Inner Loop Header: Depth=3
	global_load_dwordx4 v[14:17], v[12:13], off offset:-8
	global_load_dwordx2 v[46:47], v40, s[82:83]
	global_load_dwordx2 v[48:49], v40, s[80:81]
	s_add_i32 s50, s50, -1
	s_add_u32 s82, s82, 8
	s_addc_u32 s83, s83, 0
	s_add_u32 s80, s80, 8
	v_mov_b32_e32 v5, s65
	s_addc_u32 s81, s81, 0
	s_cmp_eq_u32 s50, 0
	s_waitcnt vmcnt(1)
	v_mul_f64 v[42:43], v[46:47], v[14:15]
	v_mul_f64 v[44:45], v[46:47], v[16:17]
	s_waitcnt vmcnt(0)
	v_fmac_f64_e32 v[42:43], v[0:1], v[48:49]
	v_fmac_f64_e32 v[44:45], v[2:3], v[48:49]
	v_mul_f64 v[14:15], v[48:49], v[14:15]
	v_mul_f64 v[16:17], v[48:49], v[16:17]
	global_store_dwordx4 v[12:13], v[42:45], off offset:-8
	v_add_co_u32_e32 v12, vcc, s64, v12
	v_fma_f64 v[0:1], v[0:1], v[46:47], -v[14:15]
	v_fma_f64 v[2:3], v[2:3], v[46:47], -v[16:17]
	v_addc_co_u32_e32 v13, vcc, v13, v5, vcc
	s_cbranch_scc0 .LBB3_90
	s_branch .LBB3_88
.LBB3_91:                               ;   in Loop: Header=BB3_4 Depth=1
	s_or_b64 exec, exec, s[76:77]
	s_mov_b64 s[76:77], 0
.LBB3_92:                               ;   in Loop: Header=BB3_4 Depth=1
	s_andn2_b64 vcc, exec, s[76:77]
	s_cbranch_vccnz .LBB3_3
; %bb.93:                               ;   in Loop: Header=BB3_4 Depth=1
	s_mov_b64 s[68:69], exec
	v_readlane_b32 s44, v41, 8
	v_readlane_b32 s45, v41, 9
	s_and_b64 s[44:45], s[68:69], s[44:45]
	s_mov_b64 exec, s[44:45]
	s_cbranch_execz .LBB3_2
; %bb.94:                               ;   in Loop: Header=BB3_4 Depth=1
	s_lshl_b64 s[44:45], s[66:67], 4
	v_mov_b32_e32 v0, s54
	v_add_co_u32_e32 v6, vcc, s55, v38
	s_add_u32 s48, s52, s44
	v_addc_co_u32_e32 v7, vcc, v39, v0, vcc
	s_addc_u32 s49, s53, s45
	s_mov_b64 s[70:71], 0
	v_mov_b32_e32 v8, v4
	s_branch .LBB3_96
.LBB3_95:                               ;   in Loop: Header=BB3_96 Depth=2
	v_add_u32_e32 v8, s4, v8
	v_cmp_le_i32_e32 vcc, s19, v8
	s_waitcnt vmcnt(0)
	global_store_dwordx4 v[10:11], v[0:3], off
	s_or_b64 s[70:71], vcc, s[70:71]
	v_mov_b32_e32 v0, s63
	v_add_co_u32_e32 v6, vcc, s62, v6
	v_addc_co_u32_e32 v7, vcc, v7, v0, vcc
	s_andn2_b64 exec, exec, s[70:71]
	s_cbranch_execz .LBB3_2
.LBB3_96:                               ;   Parent Loop BB3_4 Depth=1
                                        ; =>  This Loop Header: Depth=2
                                        ;       Child Loop BB3_97 Depth 3
	v_ashrrev_i32_e32 v9, 31, v8
	v_lshlrev_b64 v[0:1], 4, v[8:9]
	v_mov_b32_e32 v2, s49
	v_add_co_u32_e32 v10, vcc, s48, v0
	v_addc_co_u32_e32 v11, vcc, v2, v1, vcc
	global_load_dwordx4 v[0:3], v[10:11], off
	s_andn2_b64 vcc, exec, s[46:47]
	v_pk_mov_b32 v[12:13], v[6:7], v[6:7] op_sel:[0,1]
	s_mov_b64 s[76:77], s[74:75]
	s_mov_b64 s[78:79], s[72:73]
	s_mov_b32 s50, s18
	s_cbranch_vccnz .LBB3_95
.LBB3_97:                               ;   Parent Loop BB3_4 Depth=1
                                        ;     Parent Loop BB3_96 Depth=2
                                        ; =>    This Inner Loop Header: Depth=3
	global_load_dwordx4 v[14:17], v[12:13], off offset:-8
	global_load_dwordx2 v[46:47], v40, s[78:79]
	global_load_dwordx2 v[48:49], v40, s[76:77]
	s_add_i32 s50, s50, -1
	s_add_u32 s78, s78, -8
	s_addc_u32 s79, s79, -1
	s_add_u32 s76, s76, -8
	v_mov_b32_e32 v5, s95
	s_addc_u32 s77, s77, -1
	s_cmp_eq_u32 s50, 0
	s_waitcnt vmcnt(1)
	v_mul_f64 v[42:43], v[46:47], v[14:15]
	v_mul_f64 v[44:45], v[46:47], v[16:17]
	s_waitcnt vmcnt(0)
	v_fmac_f64_e32 v[42:43], v[0:1], v[48:49]
	v_fmac_f64_e32 v[44:45], v[2:3], v[48:49]
	v_mul_f64 v[14:15], v[48:49], v[14:15]
	v_mul_f64 v[16:17], v[48:49], v[16:17]
	global_store_dwordx4 v[12:13], v[42:45], off offset:-8
	v_add_co_u32_e32 v12, vcc, s94, v12
	v_fma_f64 v[0:1], v[0:1], v[46:47], -v[14:15]
	v_fma_f64 v[2:3], v[2:3], v[46:47], -v[16:17]
	v_addc_co_u32_e32 v13, vcc, v13, v5, vcc
	s_cbranch_scc0 .LBB3_97
	s_branch .LBB3_95
.LBB3_98:
	s_endpgm
	.section	.rodata,"a",@progbits
	.p2align	6, 0x0
	.amdhsa_kernel _ZN9rocsolver6v33100L11lasr_kernelI19rocblas_complex_numIdEdPS3_iEEv13rocblas_side_14rocblas_pivot_15rocblas_direct_T2_S8_PT0_lSA_lT1_lS8_lS8_
		.amdhsa_group_segment_fixed_size 0
		.amdhsa_private_segment_fixed_size 0
		.amdhsa_kernarg_size 352
		.amdhsa_user_sgpr_count 6
		.amdhsa_user_sgpr_private_segment_buffer 1
		.amdhsa_user_sgpr_dispatch_ptr 0
		.amdhsa_user_sgpr_queue_ptr 0
		.amdhsa_user_sgpr_kernarg_segment_ptr 1
		.amdhsa_user_sgpr_dispatch_id 0
		.amdhsa_user_sgpr_flat_scratch_init 0
		.amdhsa_user_sgpr_kernarg_preload_length 0
		.amdhsa_user_sgpr_kernarg_preload_offset 0
		.amdhsa_user_sgpr_private_segment_size 0
		.amdhsa_uses_dynamic_stack 0
		.amdhsa_system_sgpr_private_segment_wavefront_offset 0
		.amdhsa_system_sgpr_workgroup_id_x 1
		.amdhsa_system_sgpr_workgroup_id_y 0
		.amdhsa_system_sgpr_workgroup_id_z 1
		.amdhsa_system_sgpr_workgroup_info 0
		.amdhsa_system_vgpr_workitem_id 0
		.amdhsa_next_free_vgpr 60
		.amdhsa_next_free_sgpr 96
		.amdhsa_accum_offset 60
		.amdhsa_reserve_vcc 1
		.amdhsa_reserve_flat_scratch 0
		.amdhsa_float_round_mode_32 0
		.amdhsa_float_round_mode_16_64 0
		.amdhsa_float_denorm_mode_32 3
		.amdhsa_float_denorm_mode_16_64 3
		.amdhsa_dx10_clamp 1
		.amdhsa_ieee_mode 1
		.amdhsa_fp16_overflow 0
		.amdhsa_tg_split 0
		.amdhsa_exception_fp_ieee_invalid_op 0
		.amdhsa_exception_fp_denorm_src 0
		.amdhsa_exception_fp_ieee_div_zero 0
		.amdhsa_exception_fp_ieee_overflow 0
		.amdhsa_exception_fp_ieee_underflow 0
		.amdhsa_exception_fp_ieee_inexact 0
		.amdhsa_exception_int_div_zero 0
	.end_amdhsa_kernel
	.section	.text._ZN9rocsolver6v33100L11lasr_kernelI19rocblas_complex_numIdEdPS3_iEEv13rocblas_side_14rocblas_pivot_15rocblas_direct_T2_S8_PT0_lSA_lT1_lS8_lS8_,"axG",@progbits,_ZN9rocsolver6v33100L11lasr_kernelI19rocblas_complex_numIdEdPS3_iEEv13rocblas_side_14rocblas_pivot_15rocblas_direct_T2_S8_PT0_lSA_lT1_lS8_lS8_,comdat
.Lfunc_end3:
	.size	_ZN9rocsolver6v33100L11lasr_kernelI19rocblas_complex_numIdEdPS3_iEEv13rocblas_side_14rocblas_pivot_15rocblas_direct_T2_S8_PT0_lSA_lT1_lS8_lS8_, .Lfunc_end3-_ZN9rocsolver6v33100L11lasr_kernelI19rocblas_complex_numIdEdPS3_iEEv13rocblas_side_14rocblas_pivot_15rocblas_direct_T2_S8_PT0_lSA_lT1_lS8_lS8_
                                        ; -- End function
	.section	.AMDGPU.csdata,"",@progbits
; Kernel info:
; codeLenInByte = 5004
; NumSgprs: 100
; NumVgprs: 60
; NumAgprs: 0
; TotalNumVgprs: 60
; ScratchSize: 0
; MemoryBound: 0
; FloatMode: 240
; IeeeMode: 1
; LDSByteSize: 0 bytes/workgroup (compile time only)
; SGPRBlocks: 12
; VGPRBlocks: 7
; NumSGPRsForWavesPerEU: 100
; NumVGPRsForWavesPerEU: 60
; AccumOffset: 60
; Occupancy: 8
; WaveLimiterHint : 0
; COMPUTE_PGM_RSRC2:SCRATCH_EN: 0
; COMPUTE_PGM_RSRC2:USER_SGPR: 6
; COMPUTE_PGM_RSRC2:TRAP_HANDLER: 0
; COMPUTE_PGM_RSRC2:TGID_X_EN: 1
; COMPUTE_PGM_RSRC2:TGID_Y_EN: 0
; COMPUTE_PGM_RSRC2:TGID_Z_EN: 1
; COMPUTE_PGM_RSRC2:TIDIG_COMP_CNT: 0
; COMPUTE_PGM_RSRC3_GFX90A:ACCUM_OFFSET: 14
; COMPUTE_PGM_RSRC3_GFX90A:TG_SPLIT: 0
	.text
	.p2alignl 6, 3212836864
	.fill 256, 4, 3212836864
	.type	__hip_cuid_19a596fb091c3c16,@object ; @__hip_cuid_19a596fb091c3c16
	.section	.bss,"aw",@nobits
	.globl	__hip_cuid_19a596fb091c3c16
__hip_cuid_19a596fb091c3c16:
	.byte	0                               ; 0x0
	.size	__hip_cuid_19a596fb091c3c16, 1

	.ident	"AMD clang version 19.0.0git (https://github.com/RadeonOpenCompute/llvm-project roc-6.4.0 25133 c7fe45cf4b819c5991fe208aaa96edf142730f1d)"
	.section	".note.GNU-stack","",@progbits
	.addrsig
	.addrsig_sym __hip_cuid_19a596fb091c3c16
	.amdgpu_metadata
---
amdhsa.kernels:
  - .agpr_count:     0
    .args:
      - .offset:         0
        .size:           4
        .value_kind:     by_value
      - .offset:         4
        .size:           4
        .value_kind:     by_value
      - .offset:         8
        .size:           4
        .value_kind:     by_value
      - .offset:         12
        .size:           4
        .value_kind:     by_value
      - .offset:         16
        .size:           4
        .value_kind:     by_value
      - .address_space:  global
        .offset:         24
        .size:           8
        .value_kind:     global_buffer
      - .offset:         32
        .size:           8
        .value_kind:     by_value
      - .address_space:  global
        .offset:         40
        .size:           8
        .value_kind:     global_buffer
      - .offset:         48
        .size:           8
        .value_kind:     by_value
      - .address_space:  global
        .offset:         56
        .size:           8
        .value_kind:     global_buffer
      - .offset:         64
        .size:           8
        .value_kind:     by_value
      - .offset:         72
        .size:           4
        .value_kind:     by_value
      - .offset:         80
        .size:           8
        .value_kind:     by_value
      - .offset:         88
        .size:           4
        .value_kind:     by_value
      - .offset:         96
        .size:           4
        .value_kind:     hidden_block_count_x
      - .offset:         100
        .size:           4
        .value_kind:     hidden_block_count_y
      - .offset:         104
        .size:           4
        .value_kind:     hidden_block_count_z
      - .offset:         108
        .size:           2
        .value_kind:     hidden_group_size_x
      - .offset:         110
        .size:           2
        .value_kind:     hidden_group_size_y
      - .offset:         112
        .size:           2
        .value_kind:     hidden_group_size_z
      - .offset:         114
        .size:           2
        .value_kind:     hidden_remainder_x
      - .offset:         116
        .size:           2
        .value_kind:     hidden_remainder_y
      - .offset:         118
        .size:           2
        .value_kind:     hidden_remainder_z
      - .offset:         136
        .size:           8
        .value_kind:     hidden_global_offset_x
      - .offset:         144
        .size:           8
        .value_kind:     hidden_global_offset_y
      - .offset:         152
        .size:           8
        .value_kind:     hidden_global_offset_z
      - .offset:         160
        .size:           2
        .value_kind:     hidden_grid_dims
    .group_segment_fixed_size: 0
    .kernarg_segment_align: 8
    .kernarg_segment_size: 352
    .language:       OpenCL C
    .language_version:
      - 2
      - 0
    .max_flat_workgroup_size: 64
    .name:           _ZN9rocsolver6v33100L11lasr_kernelIffPfiEEv13rocblas_side_14rocblas_pivot_15rocblas_direct_T2_S6_PT0_lS8_lT1_lS6_lS6_
    .private_segment_fixed_size: 0
    .sgpr_count:     100
    .sgpr_spill_count: 10
    .symbol:         _ZN9rocsolver6v33100L11lasr_kernelIffPfiEEv13rocblas_side_14rocblas_pivot_15rocblas_direct_T2_S6_PT0_lS8_lT1_lS6_lS6_.kd
    .uniform_work_group_size: 1
    .uses_dynamic_stack: false
    .vgpr_count:     43
    .vgpr_spill_count: 0
    .wavefront_size: 64
  - .agpr_count:     0
    .args:
      - .offset:         0
        .size:           4
        .value_kind:     by_value
      - .offset:         4
        .size:           4
        .value_kind:     by_value
      - .offset:         8
        .size:           4
        .value_kind:     by_value
      - .offset:         12
        .size:           4
        .value_kind:     by_value
      - .offset:         16
        .size:           4
        .value_kind:     by_value
      - .address_space:  global
        .offset:         24
        .size:           8
        .value_kind:     global_buffer
      - .offset:         32
        .size:           8
        .value_kind:     by_value
      - .address_space:  global
        .offset:         40
        .size:           8
        .value_kind:     global_buffer
      - .offset:         48
        .size:           8
        .value_kind:     by_value
      - .address_space:  global
        .offset:         56
        .size:           8
        .value_kind:     global_buffer
      - .offset:         64
        .size:           8
        .value_kind:     by_value
      - .offset:         72
        .size:           4
        .value_kind:     by_value
      - .offset:         80
        .size:           8
        .value_kind:     by_value
      - .offset:         88
        .size:           4
        .value_kind:     by_value
      - .offset:         96
        .size:           4
        .value_kind:     hidden_block_count_x
      - .offset:         100
        .size:           4
        .value_kind:     hidden_block_count_y
      - .offset:         104
        .size:           4
        .value_kind:     hidden_block_count_z
      - .offset:         108
        .size:           2
        .value_kind:     hidden_group_size_x
      - .offset:         110
        .size:           2
        .value_kind:     hidden_group_size_y
      - .offset:         112
        .size:           2
        .value_kind:     hidden_group_size_z
      - .offset:         114
        .size:           2
        .value_kind:     hidden_remainder_x
      - .offset:         116
        .size:           2
        .value_kind:     hidden_remainder_y
      - .offset:         118
        .size:           2
        .value_kind:     hidden_remainder_z
      - .offset:         136
        .size:           8
        .value_kind:     hidden_global_offset_x
      - .offset:         144
        .size:           8
        .value_kind:     hidden_global_offset_y
      - .offset:         152
        .size:           8
        .value_kind:     hidden_global_offset_z
      - .offset:         160
        .size:           2
        .value_kind:     hidden_grid_dims
    .group_segment_fixed_size: 0
    .kernarg_segment_align: 8
    .kernarg_segment_size: 352
    .language:       OpenCL C
    .language_version:
      - 2
      - 0
    .max_flat_workgroup_size: 64
    .name:           _ZN9rocsolver6v33100L11lasr_kernelIddPdiEEv13rocblas_side_14rocblas_pivot_15rocblas_direct_T2_S6_PT0_lS8_lT1_lS6_lS6_
    .private_segment_fixed_size: 0
    .sgpr_count:     100
    .sgpr_spill_count: 10
    .symbol:         _ZN9rocsolver6v33100L11lasr_kernelIddPdiEEv13rocblas_side_14rocblas_pivot_15rocblas_direct_T2_S6_PT0_lS8_lT1_lS6_lS6_.kd
    .uniform_work_group_size: 1
    .uses_dynamic_stack: false
    .vgpr_count:     50
    .vgpr_spill_count: 0
    .wavefront_size: 64
  - .agpr_count:     0
    .args:
      - .offset:         0
        .size:           4
        .value_kind:     by_value
      - .offset:         4
        .size:           4
        .value_kind:     by_value
      - .offset:         8
        .size:           4
        .value_kind:     by_value
      - .offset:         12
        .size:           4
        .value_kind:     by_value
      - .offset:         16
        .size:           4
        .value_kind:     by_value
      - .address_space:  global
        .offset:         24
        .size:           8
        .value_kind:     global_buffer
      - .offset:         32
        .size:           8
        .value_kind:     by_value
      - .address_space:  global
        .offset:         40
        .size:           8
        .value_kind:     global_buffer
      - .offset:         48
        .size:           8
        .value_kind:     by_value
      - .address_space:  global
        .offset:         56
        .size:           8
        .value_kind:     global_buffer
      - .offset:         64
        .size:           8
        .value_kind:     by_value
      - .offset:         72
        .size:           4
        .value_kind:     by_value
      - .offset:         80
        .size:           8
        .value_kind:     by_value
      - .offset:         88
        .size:           4
        .value_kind:     by_value
      - .offset:         96
        .size:           4
        .value_kind:     hidden_block_count_x
      - .offset:         100
        .size:           4
        .value_kind:     hidden_block_count_y
      - .offset:         104
        .size:           4
        .value_kind:     hidden_block_count_z
      - .offset:         108
        .size:           2
        .value_kind:     hidden_group_size_x
      - .offset:         110
        .size:           2
        .value_kind:     hidden_group_size_y
      - .offset:         112
        .size:           2
        .value_kind:     hidden_group_size_z
      - .offset:         114
        .size:           2
        .value_kind:     hidden_remainder_x
      - .offset:         116
        .size:           2
        .value_kind:     hidden_remainder_y
      - .offset:         118
        .size:           2
        .value_kind:     hidden_remainder_z
      - .offset:         136
        .size:           8
        .value_kind:     hidden_global_offset_x
      - .offset:         144
        .size:           8
        .value_kind:     hidden_global_offset_y
      - .offset:         152
        .size:           8
        .value_kind:     hidden_global_offset_z
      - .offset:         160
        .size:           2
        .value_kind:     hidden_grid_dims
    .group_segment_fixed_size: 0
    .kernarg_segment_align: 8
    .kernarg_segment_size: 352
    .language:       OpenCL C
    .language_version:
      - 2
      - 0
    .max_flat_workgroup_size: 64
    .name:           _ZN9rocsolver6v33100L11lasr_kernelI19rocblas_complex_numIfEfPS3_iEEv13rocblas_side_14rocblas_pivot_15rocblas_direct_T2_S8_PT0_lSA_lT1_lS8_lS8_
    .private_segment_fixed_size: 0
    .sgpr_count:     100
    .sgpr_spill_count: 10
    .symbol:         _ZN9rocsolver6v33100L11lasr_kernelI19rocblas_complex_numIfEfPS3_iEEv13rocblas_side_14rocblas_pivot_15rocblas_direct_T2_S8_PT0_lSA_lT1_lS8_lS8_.kd
    .uniform_work_group_size: 1
    .uses_dynamic_stack: false
    .vgpr_count:     49
    .vgpr_spill_count: 0
    .wavefront_size: 64
  - .agpr_count:     0
    .args:
      - .offset:         0
        .size:           4
        .value_kind:     by_value
      - .offset:         4
        .size:           4
        .value_kind:     by_value
      - .offset:         8
        .size:           4
        .value_kind:     by_value
      - .offset:         12
        .size:           4
        .value_kind:     by_value
      - .offset:         16
        .size:           4
        .value_kind:     by_value
      - .address_space:  global
        .offset:         24
        .size:           8
        .value_kind:     global_buffer
      - .offset:         32
        .size:           8
        .value_kind:     by_value
      - .address_space:  global
        .offset:         40
        .size:           8
        .value_kind:     global_buffer
      - .offset:         48
        .size:           8
        .value_kind:     by_value
      - .address_space:  global
        .offset:         56
        .size:           8
        .value_kind:     global_buffer
      - .offset:         64
        .size:           8
        .value_kind:     by_value
      - .offset:         72
        .size:           4
        .value_kind:     by_value
      - .offset:         80
        .size:           8
        .value_kind:     by_value
      - .offset:         88
        .size:           4
        .value_kind:     by_value
      - .offset:         96
        .size:           4
        .value_kind:     hidden_block_count_x
      - .offset:         100
        .size:           4
        .value_kind:     hidden_block_count_y
      - .offset:         104
        .size:           4
        .value_kind:     hidden_block_count_z
      - .offset:         108
        .size:           2
        .value_kind:     hidden_group_size_x
      - .offset:         110
        .size:           2
        .value_kind:     hidden_group_size_y
      - .offset:         112
        .size:           2
        .value_kind:     hidden_group_size_z
      - .offset:         114
        .size:           2
        .value_kind:     hidden_remainder_x
      - .offset:         116
        .size:           2
        .value_kind:     hidden_remainder_y
      - .offset:         118
        .size:           2
        .value_kind:     hidden_remainder_z
      - .offset:         136
        .size:           8
        .value_kind:     hidden_global_offset_x
      - .offset:         144
        .size:           8
        .value_kind:     hidden_global_offset_y
      - .offset:         152
        .size:           8
        .value_kind:     hidden_global_offset_z
      - .offset:         160
        .size:           2
        .value_kind:     hidden_grid_dims
    .group_segment_fixed_size: 0
    .kernarg_segment_align: 8
    .kernarg_segment_size: 352
    .language:       OpenCL C
    .language_version:
      - 2
      - 0
    .max_flat_workgroup_size: 64
    .name:           _ZN9rocsolver6v33100L11lasr_kernelI19rocblas_complex_numIdEdPS3_iEEv13rocblas_side_14rocblas_pivot_15rocblas_direct_T2_S8_PT0_lSA_lT1_lS8_lS8_
    .private_segment_fixed_size: 0
    .sgpr_count:     100
    .sgpr_spill_count: 10
    .symbol:         _ZN9rocsolver6v33100L11lasr_kernelI19rocblas_complex_numIdEdPS3_iEEv13rocblas_side_14rocblas_pivot_15rocblas_direct_T2_S8_PT0_lSA_lT1_lS8_lS8_.kd
    .uniform_work_group_size: 1
    .uses_dynamic_stack: false
    .vgpr_count:     60
    .vgpr_spill_count: 0
    .wavefront_size: 64
amdhsa.target:   amdgcn-amd-amdhsa--gfx90a
amdhsa.version:
  - 1
  - 2
...

	.end_amdgpu_metadata
